;; amdgpu-corpus repo=llvm/llvm-project kind=harvested arch=n/a opt=n/a
// NOTE: Assertions have been autogenerated by utils/update_mc_test_checks.py UTC_ARGS: --unique --sort --version 6
// RUN: llvm-mc -triple=amdgcn -mcpu=bonaire -show-encoding %s | FileCheck %s

s_absdiff_i32 exec_hi, s1, s2
// CHECK: s_absdiff_i32 exec_hi, s1, s2           ; encoding: [0x01,0x02,0x7f,0x96]

s_absdiff_i32 exec_lo, s1, s2
// CHECK: s_absdiff_i32 exec_lo, s1, s2           ; encoding: [0x01,0x02,0x7e,0x96]

s_absdiff_i32 flat_scratch_hi, s1, s2
// CHECK: s_absdiff_i32 flat_scratch_hi, s1, s2   ; encoding: [0x01,0x02,0x69,0x96]

s_absdiff_i32 flat_scratch_lo, s1, s2
// CHECK: s_absdiff_i32 flat_scratch_lo, s1, s2   ; encoding: [0x01,0x02,0x68,0x96]

s_absdiff_i32 m0, s1, s2
// CHECK: s_absdiff_i32 m0, s1, s2                ; encoding: [0x01,0x02,0x7c,0x96]

s_absdiff_i32 s103, s1, s2
// CHECK: s_absdiff_i32 s103, s1, s2              ; encoding: [0x01,0x02,0x67,0x96]

s_absdiff_i32 s5, -1, s2
// CHECK: s_absdiff_i32 s5, -1, s2                ; encoding: [0xc1,0x02,0x05,0x96]

s_absdiff_i32 s5, -4.0, s2
// CHECK: s_absdiff_i32 s5, -4.0, s2              ; encoding: [0xf7,0x02,0x05,0x96]

s_absdiff_i32 s5, 0, s2
// CHECK: s_absdiff_i32 s5, 0, s2                 ; encoding: [0x80,0x02,0x05,0x96]

s_absdiff_i32 s5, 0.5, s2
// CHECK: s_absdiff_i32 s5, 0.5, s2               ; encoding: [0xf0,0x02,0x05,0x96]

s_absdiff_i32 s5, 0x3f717273, s2
// CHECK: s_absdiff_i32 s5, 0x3f717273, s2        ; encoding: [0xff,0x02,0x05,0x96,0x73,0x72,0x71,0x3f]

s_absdiff_i32 s5, 0xaf123456, s2
// CHECK: s_absdiff_i32 s5, 0xaf123456, s2        ; encoding: [0xff,0x02,0x05,0x96,0x56,0x34,0x12,0xaf]

s_absdiff_i32 s5, exec_hi, s2
// CHECK: s_absdiff_i32 s5, exec_hi, s2           ; encoding: [0x7f,0x02,0x05,0x96]

s_absdiff_i32 s5, exec_lo, s2
// CHECK: s_absdiff_i32 s5, exec_lo, s2           ; encoding: [0x7e,0x02,0x05,0x96]

s_absdiff_i32 s5, flat_scratch_hi, s2
// CHECK: s_absdiff_i32 s5, flat_scratch_hi, s2   ; encoding: [0x69,0x02,0x05,0x96]

s_absdiff_i32 s5, flat_scratch_lo, s2
// CHECK: s_absdiff_i32 s5, flat_scratch_lo, s2   ; encoding: [0x68,0x02,0x05,0x96]

s_absdiff_i32 s5, m0, s2
// CHECK: s_absdiff_i32 s5, m0, s2                ; encoding: [0x7c,0x02,0x05,0x96]

s_absdiff_i32 s5, s1, -1
// CHECK: s_absdiff_i32 s5, s1, -1                ; encoding: [0x01,0xc1,0x05,0x96]

s_absdiff_i32 s5, s1, -4.0
// CHECK: s_absdiff_i32 s5, s1, -4.0              ; encoding: [0x01,0xf7,0x05,0x96]

s_absdiff_i32 s5, s1, 0
// CHECK: s_absdiff_i32 s5, s1, 0                 ; encoding: [0x01,0x80,0x05,0x96]

s_absdiff_i32 s5, s1, 0.5
// CHECK: s_absdiff_i32 s5, s1, 0.5               ; encoding: [0x01,0xf0,0x05,0x96]

s_absdiff_i32 s5, s1, 0x3f717273
// CHECK: s_absdiff_i32 s5, s1, 0x3f717273        ; encoding: [0x01,0xff,0x05,0x96,0x73,0x72,0x71,0x3f]

s_absdiff_i32 s5, s1, 0xaf123456
// CHECK: s_absdiff_i32 s5, s1, 0xaf123456        ; encoding: [0x01,0xff,0x05,0x96,0x56,0x34,0x12,0xaf]

s_absdiff_i32 s5, s1, exec_hi
// CHECK: s_absdiff_i32 s5, s1, exec_hi           ; encoding: [0x01,0x7f,0x05,0x96]

s_absdiff_i32 s5, s1, exec_lo
// CHECK: s_absdiff_i32 s5, s1, exec_lo           ; encoding: [0x01,0x7e,0x05,0x96]

s_absdiff_i32 s5, s1, flat_scratch_hi
// CHECK: s_absdiff_i32 s5, s1, flat_scratch_hi   ; encoding: [0x01,0x69,0x05,0x96]

s_absdiff_i32 s5, s1, flat_scratch_lo
// CHECK: s_absdiff_i32 s5, s1, flat_scratch_lo   ; encoding: [0x01,0x68,0x05,0x96]

s_absdiff_i32 s5, s1, m0
// CHECK: s_absdiff_i32 s5, s1, m0                ; encoding: [0x01,0x7c,0x05,0x96]

s_absdiff_i32 s5, s1, s103
// CHECK: s_absdiff_i32 s5, s1, s103              ; encoding: [0x01,0x67,0x05,0x96]

s_absdiff_i32 s5, s1, s2
// CHECK: s_absdiff_i32 s5, s1, s2                ; encoding: [0x01,0x02,0x05,0x96]

s_absdiff_i32 s5, s1, src_execz
// CHECK: s_absdiff_i32 s5, s1, src_execz         ; encoding: [0x01,0xfc,0x05,0x96]

s_absdiff_i32 s5, s1, src_scc
// CHECK: s_absdiff_i32 s5, s1, src_scc           ; encoding: [0x01,0xfd,0x05,0x96]

s_absdiff_i32 s5, s1, src_vccz
// CHECK: s_absdiff_i32 s5, s1, src_vccz          ; encoding: [0x01,0xfb,0x05,0x96]

s_absdiff_i32 s5, s1, tba_hi
// CHECK: s_absdiff_i32 s5, s1, tba_hi            ; encoding: [0x01,0x6d,0x05,0x96]

s_absdiff_i32 s5, s1, tba_lo
// CHECK: s_absdiff_i32 s5, s1, tba_lo            ; encoding: [0x01,0x6c,0x05,0x96]

s_absdiff_i32 s5, s1, tma_hi
// CHECK: s_absdiff_i32 s5, s1, tma_hi            ; encoding: [0x01,0x6f,0x05,0x96]

s_absdiff_i32 s5, s1, tma_lo
// CHECK: s_absdiff_i32 s5, s1, tma_lo            ; encoding: [0x01,0x6e,0x05,0x96]

s_absdiff_i32 s5, s1, ttmp11
// CHECK: s_absdiff_i32 s5, s1, ttmp11            ; encoding: [0x01,0x7b,0x05,0x96]

s_absdiff_i32 s5, s1, vcc_hi
// CHECK: s_absdiff_i32 s5, s1, vcc_hi            ; encoding: [0x01,0x6b,0x05,0x96]

s_absdiff_i32 s5, s1, vcc_lo
// CHECK: s_absdiff_i32 s5, s1, vcc_lo            ; encoding: [0x01,0x6a,0x05,0x96]

s_absdiff_i32 s5, s103, s2
// CHECK: s_absdiff_i32 s5, s103, s2              ; encoding: [0x67,0x02,0x05,0x96]

s_absdiff_i32 s5, src_execz, s2
// CHECK: s_absdiff_i32 s5, src_execz, s2         ; encoding: [0xfc,0x02,0x05,0x96]

s_absdiff_i32 s5, src_scc, s2
// CHECK: s_absdiff_i32 s5, src_scc, s2           ; encoding: [0xfd,0x02,0x05,0x96]

s_absdiff_i32 s5, src_vccz, s2
// CHECK: s_absdiff_i32 s5, src_vccz, s2          ; encoding: [0xfb,0x02,0x05,0x96]

s_absdiff_i32 s5, tba_hi, s2
// CHECK: s_absdiff_i32 s5, tba_hi, s2            ; encoding: [0x6d,0x02,0x05,0x96]

s_absdiff_i32 s5, tba_lo, s2
// CHECK: s_absdiff_i32 s5, tba_lo, s2            ; encoding: [0x6c,0x02,0x05,0x96]

s_absdiff_i32 s5, tma_hi, s2
// CHECK: s_absdiff_i32 s5, tma_hi, s2            ; encoding: [0x6f,0x02,0x05,0x96]

s_absdiff_i32 s5, tma_lo, s2
// CHECK: s_absdiff_i32 s5, tma_lo, s2            ; encoding: [0x6e,0x02,0x05,0x96]

s_absdiff_i32 s5, ttmp11, s2
// CHECK: s_absdiff_i32 s5, ttmp11, s2            ; encoding: [0x7b,0x02,0x05,0x96]

s_absdiff_i32 s5, vcc_hi, s2
// CHECK: s_absdiff_i32 s5, vcc_hi, s2            ; encoding: [0x6b,0x02,0x05,0x96]

s_absdiff_i32 s5, vcc_lo, s2
// CHECK: s_absdiff_i32 s5, vcc_lo, s2            ; encoding: [0x6a,0x02,0x05,0x96]

s_absdiff_i32 tba_hi, s1, s2
// CHECK: s_absdiff_i32 tba_hi, s1, s2            ; encoding: [0x01,0x02,0x6d,0x96]

s_absdiff_i32 tba_lo, s1, s2
// CHECK: s_absdiff_i32 tba_lo, s1, s2            ; encoding: [0x01,0x02,0x6c,0x96]

s_absdiff_i32 tma_hi, s1, s2
// CHECK: s_absdiff_i32 tma_hi, s1, s2            ; encoding: [0x01,0x02,0x6f,0x96]

s_absdiff_i32 tma_lo, s1, s2
// CHECK: s_absdiff_i32 tma_lo, s1, s2            ; encoding: [0x01,0x02,0x6e,0x96]

s_absdiff_i32 ttmp11, s1, s2
// CHECK: s_absdiff_i32 ttmp11, s1, s2            ; encoding: [0x01,0x02,0x7b,0x96]

s_absdiff_i32 vcc_hi, s1, s2
// CHECK: s_absdiff_i32 vcc_hi, s1, s2            ; encoding: [0x01,0x02,0x6b,0x96]

s_absdiff_i32 vcc_lo, s1, s2
// CHECK: s_absdiff_i32 vcc_lo, s1, s2            ; encoding: [0x01,0x02,0x6a,0x96]

s_add_i32 exec_hi, s1, s2
// CHECK: s_add_i32 exec_hi, s1, s2               ; encoding: [0x01,0x02,0x7f,0x81]

s_add_i32 exec_lo, s1, s2
// CHECK: s_add_i32 exec_lo, s1, s2               ; encoding: [0x01,0x02,0x7e,0x81]

s_add_i32 flat_scratch_hi, s1, s2
// CHECK: s_add_i32 flat_scratch_hi, s1, s2       ; encoding: [0x01,0x02,0x69,0x81]

s_add_i32 flat_scratch_lo, s1, s2
// CHECK: s_add_i32 flat_scratch_lo, s1, s2       ; encoding: [0x01,0x02,0x68,0x81]

s_add_i32 m0, s1, s2
// CHECK: s_add_i32 m0, s1, s2                    ; encoding: [0x01,0x02,0x7c,0x81]

s_add_i32 s103, s1, s2
// CHECK: s_add_i32 s103, s1, s2                  ; encoding: [0x01,0x02,0x67,0x81]

s_add_i32 s5, -1, s2
// CHECK: s_add_i32 s5, -1, s2                    ; encoding: [0xc1,0x02,0x05,0x81]

s_add_i32 s5, -4.0, s2
// CHECK: s_add_i32 s5, -4.0, s2                  ; encoding: [0xf7,0x02,0x05,0x81]

s_add_i32 s5, 0, s2
// CHECK: s_add_i32 s5, 0, s2                     ; encoding: [0x80,0x02,0x05,0x81]

s_add_i32 s5, 0.5, s2
// CHECK: s_add_i32 s5, 0.5, s2                   ; encoding: [0xf0,0x02,0x05,0x81]

s_add_i32 s5, 0x3f717273, s2
// CHECK: s_add_i32 s5, 0x3f717273, s2            ; encoding: [0xff,0x02,0x05,0x81,0x73,0x72,0x71,0x3f]

s_add_i32 s5, 0xaf123456, s2
// CHECK: s_add_i32 s5, 0xaf123456, s2            ; encoding: [0xff,0x02,0x05,0x81,0x56,0x34,0x12,0xaf]

s_add_i32 s5, exec_hi, s2
// CHECK: s_add_i32 s5, exec_hi, s2               ; encoding: [0x7f,0x02,0x05,0x81]

s_add_i32 s5, exec_lo, s2
// CHECK: s_add_i32 s5, exec_lo, s2               ; encoding: [0x7e,0x02,0x05,0x81]

s_add_i32 s5, flat_scratch_hi, s2
// CHECK: s_add_i32 s5, flat_scratch_hi, s2       ; encoding: [0x69,0x02,0x05,0x81]

s_add_i32 s5, flat_scratch_lo, s2
// CHECK: s_add_i32 s5, flat_scratch_lo, s2       ; encoding: [0x68,0x02,0x05,0x81]

s_add_i32 s5, m0, s2
// CHECK: s_add_i32 s5, m0, s2                    ; encoding: [0x7c,0x02,0x05,0x81]

s_add_i32 s5, s1, -1
// CHECK: s_add_i32 s5, s1, -1                    ; encoding: [0x01,0xc1,0x05,0x81]

s_add_i32 s5, s1, -4.0
// CHECK: s_add_i32 s5, s1, -4.0                  ; encoding: [0x01,0xf7,0x05,0x81]

s_add_i32 s5, s1, 0
// CHECK: s_add_i32 s5, s1, 0                     ; encoding: [0x01,0x80,0x05,0x81]

s_add_i32 s5, s1, 0.5
// CHECK: s_add_i32 s5, s1, 0.5                   ; encoding: [0x01,0xf0,0x05,0x81]

s_add_i32 s5, s1, 0x3f717273
// CHECK: s_add_i32 s5, s1, 0x3f717273            ; encoding: [0x01,0xff,0x05,0x81,0x73,0x72,0x71,0x3f]

s_add_i32 s5, s1, 0xaf123456
// CHECK: s_add_i32 s5, s1, 0xaf123456            ; encoding: [0x01,0xff,0x05,0x81,0x56,0x34,0x12,0xaf]

s_add_i32 s5, s1, exec_hi
// CHECK: s_add_i32 s5, s1, exec_hi               ; encoding: [0x01,0x7f,0x05,0x81]

s_add_i32 s5, s1, exec_lo
// CHECK: s_add_i32 s5, s1, exec_lo               ; encoding: [0x01,0x7e,0x05,0x81]

s_add_i32 s5, s1, flat_scratch_hi
// CHECK: s_add_i32 s5, s1, flat_scratch_hi       ; encoding: [0x01,0x69,0x05,0x81]

s_add_i32 s5, s1, flat_scratch_lo
// CHECK: s_add_i32 s5, s1, flat_scratch_lo       ; encoding: [0x01,0x68,0x05,0x81]

s_add_i32 s5, s1, m0
// CHECK: s_add_i32 s5, s1, m0                    ; encoding: [0x01,0x7c,0x05,0x81]

s_add_i32 s5, s1, s103
// CHECK: s_add_i32 s5, s1, s103                  ; encoding: [0x01,0x67,0x05,0x81]

s_add_i32 s5, s1, s2
// CHECK: s_add_i32 s5, s1, s2                    ; encoding: [0x01,0x02,0x05,0x81]

s_add_i32 s5, s1, src_execz
// CHECK: s_add_i32 s5, s1, src_execz             ; encoding: [0x01,0xfc,0x05,0x81]

s_add_i32 s5, s1, src_scc
// CHECK: s_add_i32 s5, s1, src_scc               ; encoding: [0x01,0xfd,0x05,0x81]

s_add_i32 s5, s1, src_vccz
// CHECK: s_add_i32 s5, s1, src_vccz              ; encoding: [0x01,0xfb,0x05,0x81]

s_add_i32 s5, s1, tba_hi
// CHECK: s_add_i32 s5, s1, tba_hi                ; encoding: [0x01,0x6d,0x05,0x81]

s_add_i32 s5, s1, tba_lo
// CHECK: s_add_i32 s5, s1, tba_lo                ; encoding: [0x01,0x6c,0x05,0x81]

s_add_i32 s5, s1, tma_hi
// CHECK: s_add_i32 s5, s1, tma_hi                ; encoding: [0x01,0x6f,0x05,0x81]

s_add_i32 s5, s1, tma_lo
// CHECK: s_add_i32 s5, s1, tma_lo                ; encoding: [0x01,0x6e,0x05,0x81]

s_add_i32 s5, s1, ttmp11
// CHECK: s_add_i32 s5, s1, ttmp11                ; encoding: [0x01,0x7b,0x05,0x81]

s_add_i32 s5, s1, vcc_hi
// CHECK: s_add_i32 s5, s1, vcc_hi                ; encoding: [0x01,0x6b,0x05,0x81]

s_add_i32 s5, s1, vcc_lo
// CHECK: s_add_i32 s5, s1, vcc_lo                ; encoding: [0x01,0x6a,0x05,0x81]

s_add_i32 s5, s103, s2
// CHECK: s_add_i32 s5, s103, s2                  ; encoding: [0x67,0x02,0x05,0x81]

s_add_i32 s5, src_execz, s2
// CHECK: s_add_i32 s5, src_execz, s2             ; encoding: [0xfc,0x02,0x05,0x81]

s_add_i32 s5, src_scc, s2
// CHECK: s_add_i32 s5, src_scc, s2               ; encoding: [0xfd,0x02,0x05,0x81]

s_add_i32 s5, src_vccz, s2
// CHECK: s_add_i32 s5, src_vccz, s2              ; encoding: [0xfb,0x02,0x05,0x81]

s_add_i32 s5, tba_hi, s2
// CHECK: s_add_i32 s5, tba_hi, s2                ; encoding: [0x6d,0x02,0x05,0x81]

s_add_i32 s5, tba_lo, s2
// CHECK: s_add_i32 s5, tba_lo, s2                ; encoding: [0x6c,0x02,0x05,0x81]

s_add_i32 s5, tma_hi, s2
// CHECK: s_add_i32 s5, tma_hi, s2                ; encoding: [0x6f,0x02,0x05,0x81]

s_add_i32 s5, tma_lo, s2
// CHECK: s_add_i32 s5, tma_lo, s2                ; encoding: [0x6e,0x02,0x05,0x81]

s_add_i32 s5, ttmp11, s2
// CHECK: s_add_i32 s5, ttmp11, s2                ; encoding: [0x7b,0x02,0x05,0x81]

s_add_i32 s5, vcc_hi, s2
// CHECK: s_add_i32 s5, vcc_hi, s2                ; encoding: [0x6b,0x02,0x05,0x81]

s_add_i32 s5, vcc_lo, s2
// CHECK: s_add_i32 s5, vcc_lo, s2                ; encoding: [0x6a,0x02,0x05,0x81]

s_add_i32 tba_hi, s1, s2
// CHECK: s_add_i32 tba_hi, s1, s2                ; encoding: [0x01,0x02,0x6d,0x81]

s_add_i32 tba_lo, s1, s2
// CHECK: s_add_i32 tba_lo, s1, s2                ; encoding: [0x01,0x02,0x6c,0x81]

s_add_i32 tma_hi, s1, s2
// CHECK: s_add_i32 tma_hi, s1, s2                ; encoding: [0x01,0x02,0x6f,0x81]

s_add_i32 tma_lo, s1, s2
// CHECK: s_add_i32 tma_lo, s1, s2                ; encoding: [0x01,0x02,0x6e,0x81]

s_add_i32 ttmp11, s1, s2
// CHECK: s_add_i32 ttmp11, s1, s2                ; encoding: [0x01,0x02,0x7b,0x81]

s_add_i32 vcc_hi, s1, s2
// CHECK: s_add_i32 vcc_hi, s1, s2                ; encoding: [0x01,0x02,0x6b,0x81]

s_add_i32 vcc_lo, s1, s2
// CHECK: s_add_i32 vcc_lo, s1, s2                ; encoding: [0x01,0x02,0x6a,0x81]

s_add_u32 exec_hi, s1, s2
// CHECK: s_add_u32 exec_hi, s1, s2               ; encoding: [0x01,0x02,0x7f,0x80]

s_add_u32 exec_lo, s1, s2
// CHECK: s_add_u32 exec_lo, s1, s2               ; encoding: [0x01,0x02,0x7e,0x80]

s_add_u32 flat_scratch_hi, s1, s2
// CHECK: s_add_u32 flat_scratch_hi, s1, s2       ; encoding: [0x01,0x02,0x69,0x80]

s_add_u32 flat_scratch_lo, s1, s2
// CHECK: s_add_u32 flat_scratch_lo, s1, s2       ; encoding: [0x01,0x02,0x68,0x80]

s_add_u32 m0, s1, s2
// CHECK: s_add_u32 m0, s1, s2                    ; encoding: [0x01,0x02,0x7c,0x80]

s_add_u32 s103, s1, s2
// CHECK: s_add_u32 s103, s1, s2                  ; encoding: [0x01,0x02,0x67,0x80]

s_add_u32 s5, -1, s2
// CHECK: s_add_u32 s5, -1, s2                    ; encoding: [0xc1,0x02,0x05,0x80]

s_add_u32 s5, -4.0, s2
// CHECK: s_add_u32 s5, -4.0, s2                  ; encoding: [0xf7,0x02,0x05,0x80]

s_add_u32 s5, 0, s2
// CHECK: s_add_u32 s5, 0, s2                     ; encoding: [0x80,0x02,0x05,0x80]

s_add_u32 s5, 0.5, s2
// CHECK: s_add_u32 s5, 0.5, s2                   ; encoding: [0xf0,0x02,0x05,0x80]

s_add_u32 s5, 0x3f717273, s2
// CHECK: s_add_u32 s5, 0x3f717273, s2            ; encoding: [0xff,0x02,0x05,0x80,0x73,0x72,0x71,0x3f]

s_add_u32 s5, 0xaf123456, s2
// CHECK: s_add_u32 s5, 0xaf123456, s2            ; encoding: [0xff,0x02,0x05,0x80,0x56,0x34,0x12,0xaf]

s_add_u32 s5, exec_hi, s2
// CHECK: s_add_u32 s5, exec_hi, s2               ; encoding: [0x7f,0x02,0x05,0x80]

s_add_u32 s5, exec_lo, s2
// CHECK: s_add_u32 s5, exec_lo, s2               ; encoding: [0x7e,0x02,0x05,0x80]

s_add_u32 s5, flat_scratch_hi, s2
// CHECK: s_add_u32 s5, flat_scratch_hi, s2       ; encoding: [0x69,0x02,0x05,0x80]

s_add_u32 s5, flat_scratch_lo, s2
// CHECK: s_add_u32 s5, flat_scratch_lo, s2       ; encoding: [0x68,0x02,0x05,0x80]

s_add_u32 s5, m0, s2
// CHECK: s_add_u32 s5, m0, s2                    ; encoding: [0x7c,0x02,0x05,0x80]

s_add_u32 s5, s1, -1
// CHECK: s_add_u32 s5, s1, -1                    ; encoding: [0x01,0xc1,0x05,0x80]

s_add_u32 s5, s1, -4.0
// CHECK: s_add_u32 s5, s1, -4.0                  ; encoding: [0x01,0xf7,0x05,0x80]

s_add_u32 s5, s1, 0
// CHECK: s_add_u32 s5, s1, 0                     ; encoding: [0x01,0x80,0x05,0x80]

s_add_u32 s5, s1, 0.5
// CHECK: s_add_u32 s5, s1, 0.5                   ; encoding: [0x01,0xf0,0x05,0x80]

s_add_u32 s5, s1, 0x3f717273
// CHECK: s_add_u32 s5, s1, 0x3f717273            ; encoding: [0x01,0xff,0x05,0x80,0x73,0x72,0x71,0x3f]

s_add_u32 s5, s1, 0xaf123456
// CHECK: s_add_u32 s5, s1, 0xaf123456            ; encoding: [0x01,0xff,0x05,0x80,0x56,0x34,0x12,0xaf]

s_add_u32 s5, s1, exec_hi
// CHECK: s_add_u32 s5, s1, exec_hi               ; encoding: [0x01,0x7f,0x05,0x80]

s_add_u32 s5, s1, exec_lo
// CHECK: s_add_u32 s5, s1, exec_lo               ; encoding: [0x01,0x7e,0x05,0x80]

s_add_u32 s5, s1, flat_scratch_hi
// CHECK: s_add_u32 s5, s1, flat_scratch_hi       ; encoding: [0x01,0x69,0x05,0x80]

s_add_u32 s5, s1, flat_scratch_lo
// CHECK: s_add_u32 s5, s1, flat_scratch_lo       ; encoding: [0x01,0x68,0x05,0x80]

s_add_u32 s5, s1, m0
// CHECK: s_add_u32 s5, s1, m0                    ; encoding: [0x01,0x7c,0x05,0x80]

s_add_u32 s5, s1, s103
// CHECK: s_add_u32 s5, s1, s103                  ; encoding: [0x01,0x67,0x05,0x80]

s_add_u32 s5, s1, s2
// CHECK: s_add_u32 s5, s1, s2                    ; encoding: [0x01,0x02,0x05,0x80]

s_add_u32 s5, s1, src_execz
// CHECK: s_add_u32 s5, s1, src_execz             ; encoding: [0x01,0xfc,0x05,0x80]

s_add_u32 s5, s1, src_scc
// CHECK: s_add_u32 s5, s1, src_scc               ; encoding: [0x01,0xfd,0x05,0x80]

s_add_u32 s5, s1, src_vccz
// CHECK: s_add_u32 s5, s1, src_vccz              ; encoding: [0x01,0xfb,0x05,0x80]

s_add_u32 s5, s1, tba_hi
// CHECK: s_add_u32 s5, s1, tba_hi                ; encoding: [0x01,0x6d,0x05,0x80]

s_add_u32 s5, s1, tba_lo
// CHECK: s_add_u32 s5, s1, tba_lo                ; encoding: [0x01,0x6c,0x05,0x80]

s_add_u32 s5, s1, tma_hi
// CHECK: s_add_u32 s5, s1, tma_hi                ; encoding: [0x01,0x6f,0x05,0x80]

s_add_u32 s5, s1, tma_lo
// CHECK: s_add_u32 s5, s1, tma_lo                ; encoding: [0x01,0x6e,0x05,0x80]

s_add_u32 s5, s1, ttmp11
// CHECK: s_add_u32 s5, s1, ttmp11                ; encoding: [0x01,0x7b,0x05,0x80]

s_add_u32 s5, s1, vcc_hi
// CHECK: s_add_u32 s5, s1, vcc_hi                ; encoding: [0x01,0x6b,0x05,0x80]

s_add_u32 s5, s1, vcc_lo
// CHECK: s_add_u32 s5, s1, vcc_lo                ; encoding: [0x01,0x6a,0x05,0x80]

s_add_u32 s5, s103, s2
// CHECK: s_add_u32 s5, s103, s2                  ; encoding: [0x67,0x02,0x05,0x80]

s_add_u32 s5, src_execz, s2
// CHECK: s_add_u32 s5, src_execz, s2             ; encoding: [0xfc,0x02,0x05,0x80]

s_add_u32 s5, src_scc, s2
// CHECK: s_add_u32 s5, src_scc, s2               ; encoding: [0xfd,0x02,0x05,0x80]

s_add_u32 s5, src_vccz, s2
// CHECK: s_add_u32 s5, src_vccz, s2              ; encoding: [0xfb,0x02,0x05,0x80]

s_add_u32 s5, tba_hi, s2
// CHECK: s_add_u32 s5, tba_hi, s2                ; encoding: [0x6d,0x02,0x05,0x80]

s_add_u32 s5, tba_lo, s2
// CHECK: s_add_u32 s5, tba_lo, s2                ; encoding: [0x6c,0x02,0x05,0x80]

s_add_u32 s5, tma_hi, s2
// CHECK: s_add_u32 s5, tma_hi, s2                ; encoding: [0x6f,0x02,0x05,0x80]

s_add_u32 s5, tma_lo, s2
// CHECK: s_add_u32 s5, tma_lo, s2                ; encoding: [0x6e,0x02,0x05,0x80]

s_add_u32 s5, ttmp11, s2
// CHECK: s_add_u32 s5, ttmp11, s2                ; encoding: [0x7b,0x02,0x05,0x80]

s_add_u32 s5, vcc_hi, s2
// CHECK: s_add_u32 s5, vcc_hi, s2                ; encoding: [0x6b,0x02,0x05,0x80]

s_add_u32 s5, vcc_lo, s2
// CHECK: s_add_u32 s5, vcc_lo, s2                ; encoding: [0x6a,0x02,0x05,0x80]

s_add_u32 tba_hi, s1, s2
// CHECK: s_add_u32 tba_hi, s1, s2                ; encoding: [0x01,0x02,0x6d,0x80]

s_add_u32 tba_lo, s1, s2
// CHECK: s_add_u32 tba_lo, s1, s2                ; encoding: [0x01,0x02,0x6c,0x80]

s_add_u32 tma_hi, s1, s2
// CHECK: s_add_u32 tma_hi, s1, s2                ; encoding: [0x01,0x02,0x6f,0x80]

s_add_u32 tma_lo, s1, s2
// CHECK: s_add_u32 tma_lo, s1, s2                ; encoding: [0x01,0x02,0x6e,0x80]

s_add_u32 ttmp11, s1, s2
// CHECK: s_add_u32 ttmp11, s1, s2                ; encoding: [0x01,0x02,0x7b,0x80]

s_add_u32 vcc_hi, s1, s2
// CHECK: s_add_u32 vcc_hi, s1, s2                ; encoding: [0x01,0x02,0x6b,0x80]

s_add_u32 vcc_lo, s1, s2
// CHECK: s_add_u32 vcc_lo, s1, s2                ; encoding: [0x01,0x02,0x6a,0x80]

s_addc_u32 exec_hi, s1, s2
// CHECK: s_addc_u32 exec_hi, s1, s2              ; encoding: [0x01,0x02,0x7f,0x82]

s_addc_u32 exec_lo, s1, s2
// CHECK: s_addc_u32 exec_lo, s1, s2              ; encoding: [0x01,0x02,0x7e,0x82]

s_addc_u32 flat_scratch_hi, s1, s2
// CHECK: s_addc_u32 flat_scratch_hi, s1, s2      ; encoding: [0x01,0x02,0x69,0x82]

s_addc_u32 flat_scratch_lo, s1, s2
// CHECK: s_addc_u32 flat_scratch_lo, s1, s2      ; encoding: [0x01,0x02,0x68,0x82]

s_addc_u32 m0, s1, s2
// CHECK: s_addc_u32 m0, s1, s2                   ; encoding: [0x01,0x02,0x7c,0x82]

s_addc_u32 s103, s1, s2
// CHECK: s_addc_u32 s103, s1, s2                 ; encoding: [0x01,0x02,0x67,0x82]

s_addc_u32 s5, -1, s2
// CHECK: s_addc_u32 s5, -1, s2                   ; encoding: [0xc1,0x02,0x05,0x82]

s_addc_u32 s5, -4.0, s2
// CHECK: s_addc_u32 s5, -4.0, s2                 ; encoding: [0xf7,0x02,0x05,0x82]

s_addc_u32 s5, 0, s2
// CHECK: s_addc_u32 s5, 0, s2                    ; encoding: [0x80,0x02,0x05,0x82]

s_addc_u32 s5, 0.5, s2
// CHECK: s_addc_u32 s5, 0.5, s2                  ; encoding: [0xf0,0x02,0x05,0x82]

s_addc_u32 s5, 0x3f717273, s2
// CHECK: s_addc_u32 s5, 0x3f717273, s2           ; encoding: [0xff,0x02,0x05,0x82,0x73,0x72,0x71,0x3f]

s_addc_u32 s5, 0xaf123456, s2
// CHECK: s_addc_u32 s5, 0xaf123456, s2           ; encoding: [0xff,0x02,0x05,0x82,0x56,0x34,0x12,0xaf]

s_addc_u32 s5, exec_hi, s2
// CHECK: s_addc_u32 s5, exec_hi, s2              ; encoding: [0x7f,0x02,0x05,0x82]

s_addc_u32 s5, exec_lo, s2
// CHECK: s_addc_u32 s5, exec_lo, s2              ; encoding: [0x7e,0x02,0x05,0x82]

s_addc_u32 s5, flat_scratch_hi, s2
// CHECK: s_addc_u32 s5, flat_scratch_hi, s2      ; encoding: [0x69,0x02,0x05,0x82]

s_addc_u32 s5, flat_scratch_lo, s2
// CHECK: s_addc_u32 s5, flat_scratch_lo, s2      ; encoding: [0x68,0x02,0x05,0x82]

s_addc_u32 s5, m0, s2
// CHECK: s_addc_u32 s5, m0, s2                   ; encoding: [0x7c,0x02,0x05,0x82]

s_addc_u32 s5, s1, -1
// CHECK: s_addc_u32 s5, s1, -1                   ; encoding: [0x01,0xc1,0x05,0x82]

s_addc_u32 s5, s1, -4.0
// CHECK: s_addc_u32 s5, s1, -4.0                 ; encoding: [0x01,0xf7,0x05,0x82]

s_addc_u32 s5, s1, 0
// CHECK: s_addc_u32 s5, s1, 0                    ; encoding: [0x01,0x80,0x05,0x82]

s_addc_u32 s5, s1, 0.5
// CHECK: s_addc_u32 s5, s1, 0.5                  ; encoding: [0x01,0xf0,0x05,0x82]

s_addc_u32 s5, s1, 0x3f717273
// CHECK: s_addc_u32 s5, s1, 0x3f717273           ; encoding: [0x01,0xff,0x05,0x82,0x73,0x72,0x71,0x3f]

s_addc_u32 s5, s1, 0xaf123456
// CHECK: s_addc_u32 s5, s1, 0xaf123456           ; encoding: [0x01,0xff,0x05,0x82,0x56,0x34,0x12,0xaf]

s_addc_u32 s5, s1, exec_hi
// CHECK: s_addc_u32 s5, s1, exec_hi              ; encoding: [0x01,0x7f,0x05,0x82]

s_addc_u32 s5, s1, exec_lo
// CHECK: s_addc_u32 s5, s1, exec_lo              ; encoding: [0x01,0x7e,0x05,0x82]

s_addc_u32 s5, s1, flat_scratch_hi
// CHECK: s_addc_u32 s5, s1, flat_scratch_hi      ; encoding: [0x01,0x69,0x05,0x82]

s_addc_u32 s5, s1, flat_scratch_lo
// CHECK: s_addc_u32 s5, s1, flat_scratch_lo      ; encoding: [0x01,0x68,0x05,0x82]

s_addc_u32 s5, s1, m0
// CHECK: s_addc_u32 s5, s1, m0                   ; encoding: [0x01,0x7c,0x05,0x82]

s_addc_u32 s5, s1, s103
// CHECK: s_addc_u32 s5, s1, s103                 ; encoding: [0x01,0x67,0x05,0x82]

s_addc_u32 s5, s1, s2
// CHECK: s_addc_u32 s5, s1, s2                   ; encoding: [0x01,0x02,0x05,0x82]

s_addc_u32 s5, s1, src_execz
// CHECK: s_addc_u32 s5, s1, src_execz            ; encoding: [0x01,0xfc,0x05,0x82]

s_addc_u32 s5, s1, src_scc
// CHECK: s_addc_u32 s5, s1, src_scc              ; encoding: [0x01,0xfd,0x05,0x82]

s_addc_u32 s5, s1, src_vccz
// CHECK: s_addc_u32 s5, s1, src_vccz             ; encoding: [0x01,0xfb,0x05,0x82]

s_addc_u32 s5, s1, tba_hi
// CHECK: s_addc_u32 s5, s1, tba_hi               ; encoding: [0x01,0x6d,0x05,0x82]

s_addc_u32 s5, s1, tba_lo
// CHECK: s_addc_u32 s5, s1, tba_lo               ; encoding: [0x01,0x6c,0x05,0x82]

s_addc_u32 s5, s1, tma_hi
// CHECK: s_addc_u32 s5, s1, tma_hi               ; encoding: [0x01,0x6f,0x05,0x82]

s_addc_u32 s5, s1, tma_lo
// CHECK: s_addc_u32 s5, s1, tma_lo               ; encoding: [0x01,0x6e,0x05,0x82]

s_addc_u32 s5, s1, ttmp11
// CHECK: s_addc_u32 s5, s1, ttmp11               ; encoding: [0x01,0x7b,0x05,0x82]

s_addc_u32 s5, s1, vcc_hi
// CHECK: s_addc_u32 s5, s1, vcc_hi               ; encoding: [0x01,0x6b,0x05,0x82]

s_addc_u32 s5, s1, vcc_lo
// CHECK: s_addc_u32 s5, s1, vcc_lo               ; encoding: [0x01,0x6a,0x05,0x82]

s_addc_u32 s5, s103, s2
// CHECK: s_addc_u32 s5, s103, s2                 ; encoding: [0x67,0x02,0x05,0x82]

s_addc_u32 s5, src_execz, s2
// CHECK: s_addc_u32 s5, src_execz, s2            ; encoding: [0xfc,0x02,0x05,0x82]

s_addc_u32 s5, src_scc, s2
// CHECK: s_addc_u32 s5, src_scc, s2              ; encoding: [0xfd,0x02,0x05,0x82]

s_addc_u32 s5, src_vccz, s2
// CHECK: s_addc_u32 s5, src_vccz, s2             ; encoding: [0xfb,0x02,0x05,0x82]

s_addc_u32 s5, tba_hi, s2
// CHECK: s_addc_u32 s5, tba_hi, s2               ; encoding: [0x6d,0x02,0x05,0x82]

s_addc_u32 s5, tba_lo, s2
// CHECK: s_addc_u32 s5, tba_lo, s2               ; encoding: [0x6c,0x02,0x05,0x82]

s_addc_u32 s5, tma_hi, s2
// CHECK: s_addc_u32 s5, tma_hi, s2               ; encoding: [0x6f,0x02,0x05,0x82]

s_addc_u32 s5, tma_lo, s2
// CHECK: s_addc_u32 s5, tma_lo, s2               ; encoding: [0x6e,0x02,0x05,0x82]

s_addc_u32 s5, ttmp11, s2
// CHECK: s_addc_u32 s5, ttmp11, s2               ; encoding: [0x7b,0x02,0x05,0x82]

s_addc_u32 s5, vcc_hi, s2
// CHECK: s_addc_u32 s5, vcc_hi, s2               ; encoding: [0x6b,0x02,0x05,0x82]

s_addc_u32 s5, vcc_lo, s2
// CHECK: s_addc_u32 s5, vcc_lo, s2               ; encoding: [0x6a,0x02,0x05,0x82]

s_addc_u32 tba_hi, s1, s2
// CHECK: s_addc_u32 tba_hi, s1, s2               ; encoding: [0x01,0x02,0x6d,0x82]

s_addc_u32 tba_lo, s1, s2
// CHECK: s_addc_u32 tba_lo, s1, s2               ; encoding: [0x01,0x02,0x6c,0x82]

s_addc_u32 tma_hi, s1, s2
// CHECK: s_addc_u32 tma_hi, s1, s2               ; encoding: [0x01,0x02,0x6f,0x82]

s_addc_u32 tma_lo, s1, s2
// CHECK: s_addc_u32 tma_lo, s1, s2               ; encoding: [0x01,0x02,0x6e,0x82]

s_addc_u32 ttmp11, s1, s2
// CHECK: s_addc_u32 ttmp11, s1, s2               ; encoding: [0x01,0x02,0x7b,0x82]

s_addc_u32 vcc_hi, s1, s2
// CHECK: s_addc_u32 vcc_hi, s1, s2               ; encoding: [0x01,0x02,0x6b,0x82]

s_addc_u32 vcc_lo, s1, s2
// CHECK: s_addc_u32 vcc_lo, s1, s2               ; encoding: [0x01,0x02,0x6a,0x82]

s_and_b32 exec_hi, s1, s2
// CHECK: s_and_b32 exec_hi, s1, s2               ; encoding: [0x01,0x02,0x7f,0x87]

s_and_b32 exec_lo, s1, s2
// CHECK: s_and_b32 exec_lo, s1, s2               ; encoding: [0x01,0x02,0x7e,0x87]

s_and_b32 flat_scratch_hi, s1, s2
// CHECK: s_and_b32 flat_scratch_hi, s1, s2       ; encoding: [0x01,0x02,0x69,0x87]

s_and_b32 flat_scratch_lo, s1, s2
// CHECK: s_and_b32 flat_scratch_lo, s1, s2       ; encoding: [0x01,0x02,0x68,0x87]

s_and_b32 m0, s1, s2
// CHECK: s_and_b32 m0, s1, s2                    ; encoding: [0x01,0x02,0x7c,0x87]

s_and_b32 s103, s1, s2
// CHECK: s_and_b32 s103, s1, s2                  ; encoding: [0x01,0x02,0x67,0x87]

s_and_b32 s5, -1, s2
// CHECK: s_and_b32 s5, -1, s2                    ; encoding: [0xc1,0x02,0x05,0x87]

s_and_b32 s5, -4.0, s2
// CHECK: s_and_b32 s5, -4.0, s2                  ; encoding: [0xf7,0x02,0x05,0x87]

s_and_b32 s5, 0, s2
// CHECK: s_and_b32 s5, 0, s2                     ; encoding: [0x80,0x02,0x05,0x87]

s_and_b32 s5, 0.5, s2
// CHECK: s_and_b32 s5, 0.5, s2                   ; encoding: [0xf0,0x02,0x05,0x87]

s_and_b32 s5, 0x3f717273, s2
// CHECK: s_and_b32 s5, 0x3f717273, s2            ; encoding: [0xff,0x02,0x05,0x87,0x73,0x72,0x71,0x3f]

s_and_b32 s5, 0xaf123456, s2
// CHECK: s_and_b32 s5, 0xaf123456, s2            ; encoding: [0xff,0x02,0x05,0x87,0x56,0x34,0x12,0xaf]

s_and_b32 s5, exec_hi, s2
// CHECK: s_and_b32 s5, exec_hi, s2               ; encoding: [0x7f,0x02,0x05,0x87]

s_and_b32 s5, exec_lo, s2
// CHECK: s_and_b32 s5, exec_lo, s2               ; encoding: [0x7e,0x02,0x05,0x87]

s_and_b32 s5, flat_scratch_hi, s2
// CHECK: s_and_b32 s5, flat_scratch_hi, s2       ; encoding: [0x69,0x02,0x05,0x87]

s_and_b32 s5, flat_scratch_lo, s2
// CHECK: s_and_b32 s5, flat_scratch_lo, s2       ; encoding: [0x68,0x02,0x05,0x87]

s_and_b32 s5, m0, s2
// CHECK: s_and_b32 s5, m0, s2                    ; encoding: [0x7c,0x02,0x05,0x87]

s_and_b32 s5, s1, -1
// CHECK: s_and_b32 s5, s1, -1                    ; encoding: [0x01,0xc1,0x05,0x87]

s_and_b32 s5, s1, -4.0
// CHECK: s_and_b32 s5, s1, -4.0                  ; encoding: [0x01,0xf7,0x05,0x87]

s_and_b32 s5, s1, 0
// CHECK: s_and_b32 s5, s1, 0                     ; encoding: [0x01,0x80,0x05,0x87]

s_and_b32 s5, s1, 0.5
// CHECK: s_and_b32 s5, s1, 0.5                   ; encoding: [0x01,0xf0,0x05,0x87]

s_and_b32 s5, s1, 0x3f717273
// CHECK: s_and_b32 s5, s1, 0x3f717273            ; encoding: [0x01,0xff,0x05,0x87,0x73,0x72,0x71,0x3f]

s_and_b32 s5, s1, 0xaf123456
// CHECK: s_and_b32 s5, s1, 0xaf123456            ; encoding: [0x01,0xff,0x05,0x87,0x56,0x34,0x12,0xaf]

s_and_b32 s5, s1, exec_hi
// CHECK: s_and_b32 s5, s1, exec_hi               ; encoding: [0x01,0x7f,0x05,0x87]

s_and_b32 s5, s1, exec_lo
// CHECK: s_and_b32 s5, s1, exec_lo               ; encoding: [0x01,0x7e,0x05,0x87]

s_and_b32 s5, s1, flat_scratch_hi
// CHECK: s_and_b32 s5, s1, flat_scratch_hi       ; encoding: [0x01,0x69,0x05,0x87]

s_and_b32 s5, s1, flat_scratch_lo
// CHECK: s_and_b32 s5, s1, flat_scratch_lo       ; encoding: [0x01,0x68,0x05,0x87]

s_and_b32 s5, s1, m0
// CHECK: s_and_b32 s5, s1, m0                    ; encoding: [0x01,0x7c,0x05,0x87]

s_and_b32 s5, s1, s103
// CHECK: s_and_b32 s5, s1, s103                  ; encoding: [0x01,0x67,0x05,0x87]

s_and_b32 s5, s1, s2
// CHECK: s_and_b32 s5, s1, s2                    ; encoding: [0x01,0x02,0x05,0x87]

s_and_b32 s5, s1, src_execz
// CHECK: s_and_b32 s5, s1, src_execz             ; encoding: [0x01,0xfc,0x05,0x87]

s_and_b32 s5, s1, src_scc
// CHECK: s_and_b32 s5, s1, src_scc               ; encoding: [0x01,0xfd,0x05,0x87]

s_and_b32 s5, s1, src_vccz
// CHECK: s_and_b32 s5, s1, src_vccz              ; encoding: [0x01,0xfb,0x05,0x87]

s_and_b32 s5, s1, tba_hi
// CHECK: s_and_b32 s5, s1, tba_hi                ; encoding: [0x01,0x6d,0x05,0x87]

s_and_b32 s5, s1, tba_lo
// CHECK: s_and_b32 s5, s1, tba_lo                ; encoding: [0x01,0x6c,0x05,0x87]

s_and_b32 s5, s1, tma_hi
// CHECK: s_and_b32 s5, s1, tma_hi                ; encoding: [0x01,0x6f,0x05,0x87]

s_and_b32 s5, s1, tma_lo
// CHECK: s_and_b32 s5, s1, tma_lo                ; encoding: [0x01,0x6e,0x05,0x87]

s_and_b32 s5, s1, ttmp11
// CHECK: s_and_b32 s5, s1, ttmp11                ; encoding: [0x01,0x7b,0x05,0x87]

s_and_b32 s5, s1, vcc_hi
// CHECK: s_and_b32 s5, s1, vcc_hi                ; encoding: [0x01,0x6b,0x05,0x87]

s_and_b32 s5, s1, vcc_lo
// CHECK: s_and_b32 s5, s1, vcc_lo                ; encoding: [0x01,0x6a,0x05,0x87]

s_and_b32 s5, s103, s2
// CHECK: s_and_b32 s5, s103, s2                  ; encoding: [0x67,0x02,0x05,0x87]

s_and_b32 s5, src_execz, s2
// CHECK: s_and_b32 s5, src_execz, s2             ; encoding: [0xfc,0x02,0x05,0x87]

s_and_b32 s5, src_scc, s2
// CHECK: s_and_b32 s5, src_scc, s2               ; encoding: [0xfd,0x02,0x05,0x87]

s_and_b32 s5, src_vccz, s2
// CHECK: s_and_b32 s5, src_vccz, s2              ; encoding: [0xfb,0x02,0x05,0x87]

s_and_b32 s5, tba_hi, s2
// CHECK: s_and_b32 s5, tba_hi, s2                ; encoding: [0x6d,0x02,0x05,0x87]

s_and_b32 s5, tba_lo, s2
// CHECK: s_and_b32 s5, tba_lo, s2                ; encoding: [0x6c,0x02,0x05,0x87]

s_and_b32 s5, tma_hi, s2
// CHECK: s_and_b32 s5, tma_hi, s2                ; encoding: [0x6f,0x02,0x05,0x87]

s_and_b32 s5, tma_lo, s2
// CHECK: s_and_b32 s5, tma_lo, s2                ; encoding: [0x6e,0x02,0x05,0x87]

s_and_b32 s5, ttmp11, s2
// CHECK: s_and_b32 s5, ttmp11, s2                ; encoding: [0x7b,0x02,0x05,0x87]

s_and_b32 s5, vcc_hi, s2
// CHECK: s_and_b32 s5, vcc_hi, s2                ; encoding: [0x6b,0x02,0x05,0x87]

s_and_b32 s5, vcc_lo, s2
// CHECK: s_and_b32 s5, vcc_lo, s2                ; encoding: [0x6a,0x02,0x05,0x87]

s_and_b32 tba_hi, s1, s2
// CHECK: s_and_b32 tba_hi, s1, s2                ; encoding: [0x01,0x02,0x6d,0x87]

s_and_b32 tba_lo, s1, s2
// CHECK: s_and_b32 tba_lo, s1, s2                ; encoding: [0x01,0x02,0x6c,0x87]

s_and_b32 tma_hi, s1, s2
// CHECK: s_and_b32 tma_hi, s1, s2                ; encoding: [0x01,0x02,0x6f,0x87]

s_and_b32 tma_lo, s1, s2
// CHECK: s_and_b32 tma_lo, s1, s2                ; encoding: [0x01,0x02,0x6e,0x87]

s_and_b32 ttmp11, s1, s2
// CHECK: s_and_b32 ttmp11, s1, s2                ; encoding: [0x01,0x02,0x7b,0x87]

s_and_b32 vcc_hi, s1, s2
// CHECK: s_and_b32 vcc_hi, s1, s2                ; encoding: [0x01,0x02,0x6b,0x87]

s_and_b32 vcc_lo, s1, s2
// CHECK: s_and_b32 vcc_lo, s1, s2                ; encoding: [0x01,0x02,0x6a,0x87]

s_and_b64 exec, s[2:3], s[4:5]
// CHECK: s_and_b64 exec, s[2:3], s[4:5]          ; encoding: [0x02,0x04,0xfe,0x87]

s_and_b64 flat_scratch, s[2:3], s[4:5]
// CHECK: s_and_b64 flat_scratch, s[2:3], s[4:5]  ; encoding: [0x02,0x04,0xe8,0x87]

s_and_b64 s[102:103], s[2:3], s[4:5]
// CHECK: s_and_b64 s[102:103], s[2:3], s[4:5]    ; encoding: [0x02,0x04,0xe6,0x87]

s_and_b64 s[10:11], -1, s[4:5]
// CHECK: s_and_b64 s[10:11], -1, s[4:5]          ; encoding: [0xc1,0x04,0x8a,0x87]

s_and_b64 s[10:11], -4.0, s[4:5]
// CHECK: s_and_b64 s[10:11], -4.0, s[4:5]        ; encoding: [0xf7,0x04,0x8a,0x87]

s_and_b64 s[10:11], 0, s[4:5]
// CHECK: s_and_b64 s[10:11], 0, s[4:5]           ; encoding: [0x80,0x04,0x8a,0x87]

s_and_b64 s[10:11], 0.5, s[4:5]
// CHECK: s_and_b64 s[10:11], 0.5, s[4:5]         ; encoding: [0xf0,0x04,0x8a,0x87]

s_and_b64 s[10:11], 0x3f717273, s[4:5]
// CHECK: s_and_b64 s[10:11], 0x3f717273, s[4:5]  ; encoding: [0xff,0x04,0x8a,0x87,0x73,0x72,0x71,0x3f]

s_and_b64 s[10:11], 0xaf123456, s[4:5]
// CHECK: s_and_b64 s[10:11], 0xaf123456, s[4:5]  ; encoding: [0xff,0x04,0x8a,0x87,0x56,0x34,0x12,0xaf]

s_and_b64 s[10:11], exec, s[4:5]
// CHECK: s_and_b64 s[10:11], exec, s[4:5]        ; encoding: [0x7e,0x04,0x8a,0x87]

s_and_b64 s[10:11], flat_scratch, s[4:5]
// CHECK: s_and_b64 s[10:11], flat_scratch, s[4:5] ; encoding: [0x68,0x04,0x8a,0x87]

s_and_b64 s[10:11], s[102:103], s[4:5]
// CHECK: s_and_b64 s[10:11], s[102:103], s[4:5]  ; encoding: [0x66,0x04,0x8a,0x87]

s_and_b64 s[10:11], s[2:3], -1
// CHECK: s_and_b64 s[10:11], s[2:3], -1          ; encoding: [0x02,0xc1,0x8a,0x87]

s_and_b64 s[10:11], s[2:3], -4.0
// CHECK: s_and_b64 s[10:11], s[2:3], -4.0        ; encoding: [0x02,0xf7,0x8a,0x87]

s_and_b64 s[10:11], s[2:3], 0
// CHECK: s_and_b64 s[10:11], s[2:3], 0           ; encoding: [0x02,0x80,0x8a,0x87]

s_and_b64 s[10:11], s[2:3], 0.5
// CHECK: s_and_b64 s[10:11], s[2:3], 0.5         ; encoding: [0x02,0xf0,0x8a,0x87]

s_and_b64 s[10:11], s[2:3], 0x3f717273
// CHECK: s_and_b64 s[10:11], s[2:3], 0x3f717273  ; encoding: [0x02,0xff,0x8a,0x87,0x73,0x72,0x71,0x3f]

s_and_b64 s[10:11], s[2:3], 0xaf123456
// CHECK: s_and_b64 s[10:11], s[2:3], 0xaf123456  ; encoding: [0x02,0xff,0x8a,0x87,0x56,0x34,0x12,0xaf]

s_and_b64 s[10:11], s[2:3], exec
// CHECK: s_and_b64 s[10:11], s[2:3], exec        ; encoding: [0x02,0x7e,0x8a,0x87]

s_and_b64 s[10:11], s[2:3], flat_scratch
// CHECK: s_and_b64 s[10:11], s[2:3], flat_scratch ; encoding: [0x02,0x68,0x8a,0x87]

s_and_b64 s[10:11], s[2:3], s[102:103]
// CHECK: s_and_b64 s[10:11], s[2:3], s[102:103]  ; encoding: [0x02,0x66,0x8a,0x87]

s_and_b64 s[10:11], s[2:3], s[4:5]
// CHECK: s_and_b64 s[10:11], s[2:3], s[4:5]      ; encoding: [0x02,0x04,0x8a,0x87]

s_and_b64 s[10:11], s[2:3], s[6:7]
// CHECK: s_and_b64 s[10:11], s[2:3], s[6:7]      ; encoding: [0x02,0x06,0x8a,0x87]

s_and_b64 s[10:11], s[2:3], src_execz
// CHECK: s_and_b64 s[10:11], s[2:3], src_execz   ; encoding: [0x02,0xfc,0x8a,0x87]

s_and_b64 s[10:11], s[2:3], src_scc
// CHECK: s_and_b64 s[10:11], s[2:3], src_scc     ; encoding: [0x02,0xfd,0x8a,0x87]

s_and_b64 s[10:11], s[2:3], src_vccz
// CHECK: s_and_b64 s[10:11], s[2:3], src_vccz    ; encoding: [0x02,0xfb,0x8a,0x87]

s_and_b64 s[10:11], s[2:3], tba
// CHECK: s_and_b64 s[10:11], s[2:3], tba         ; encoding: [0x02,0x6c,0x8a,0x87]

s_and_b64 s[10:11], s[2:3], tma
// CHECK: s_and_b64 s[10:11], s[2:3], tma         ; encoding: [0x02,0x6e,0x8a,0x87]

s_and_b64 s[10:11], s[2:3], ttmp[10:11]
// CHECK: s_and_b64 s[10:11], s[2:3], ttmp[10:11] ; encoding: [0x02,0x7a,0x8a,0x87]

s_and_b64 s[10:11], s[2:3], vcc
// CHECK: s_and_b64 s[10:11], s[2:3], vcc         ; encoding: [0x02,0x6a,0x8a,0x87]

s_and_b64 s[10:11], s[4:5], s[4:5]
// CHECK: s_and_b64 s[10:11], s[4:5], s[4:5]      ; encoding: [0x04,0x04,0x8a,0x87]

s_and_b64 s[10:11], src_execz, s[4:5]
// CHECK: s_and_b64 s[10:11], src_execz, s[4:5]   ; encoding: [0xfc,0x04,0x8a,0x87]

s_and_b64 s[10:11], src_scc, s[4:5]
// CHECK: s_and_b64 s[10:11], src_scc, s[4:5]     ; encoding: [0xfd,0x04,0x8a,0x87]

s_and_b64 s[10:11], src_vccz, s[4:5]
// CHECK: s_and_b64 s[10:11], src_vccz, s[4:5]    ; encoding: [0xfb,0x04,0x8a,0x87]

s_and_b64 s[10:11], tba, s[4:5]
// CHECK: s_and_b64 s[10:11], tba, s[4:5]         ; encoding: [0x6c,0x04,0x8a,0x87]

s_and_b64 s[10:11], tma, s[4:5]
// CHECK: s_and_b64 s[10:11], tma, s[4:5]         ; encoding: [0x6e,0x04,0x8a,0x87]

s_and_b64 s[10:11], ttmp[10:11], s[4:5]
// CHECK: s_and_b64 s[10:11], ttmp[10:11], s[4:5] ; encoding: [0x7a,0x04,0x8a,0x87]

s_and_b64 s[10:11], vcc, s[4:5]
// CHECK: s_and_b64 s[10:11], vcc, s[4:5]         ; encoding: [0x6a,0x04,0x8a,0x87]

s_and_b64 s[12:13], s[2:3], s[4:5]
// CHECK: s_and_b64 s[12:13], s[2:3], s[4:5]      ; encoding: [0x02,0x04,0x8c,0x87]

s_and_b64 tba, s[2:3], s[4:5]
// CHECK: s_and_b64 tba, s[2:3], s[4:5]           ; encoding: [0x02,0x04,0xec,0x87]

s_and_b64 tma, s[2:3], s[4:5]
// CHECK: s_and_b64 tma, s[2:3], s[4:5]           ; encoding: [0x02,0x04,0xee,0x87]

s_and_b64 ttmp[10:11], s[2:3], s[4:5]
// CHECK: s_and_b64 ttmp[10:11], s[2:3], s[4:5]   ; encoding: [0x02,0x04,0xfa,0x87]

s_and_b64 vcc, s[2:3], s[4:5]
// CHECK: s_and_b64 vcc, s[2:3], s[4:5]           ; encoding: [0x02,0x04,0xea,0x87]

s_andn2_b32 exec_hi, s1, s2
// CHECK: s_andn2_b32 exec_hi, s1, s2             ; encoding: [0x01,0x02,0x7f,0x8a]

s_andn2_b32 exec_lo, s1, s2
// CHECK: s_andn2_b32 exec_lo, s1, s2             ; encoding: [0x01,0x02,0x7e,0x8a]

s_andn2_b32 flat_scratch_hi, s1, s2
// CHECK: s_andn2_b32 flat_scratch_hi, s1, s2     ; encoding: [0x01,0x02,0x69,0x8a]

s_andn2_b32 flat_scratch_lo, s1, s2
// CHECK: s_andn2_b32 flat_scratch_lo, s1, s2     ; encoding: [0x01,0x02,0x68,0x8a]

s_andn2_b32 m0, s1, s2
// CHECK: s_andn2_b32 m0, s1, s2                  ; encoding: [0x01,0x02,0x7c,0x8a]

s_andn2_b32 s103, s1, s2
// CHECK: s_andn2_b32 s103, s1, s2                ; encoding: [0x01,0x02,0x67,0x8a]

s_andn2_b32 s5, -1, s2
// CHECK: s_andn2_b32 s5, -1, s2                  ; encoding: [0xc1,0x02,0x05,0x8a]

s_andn2_b32 s5, -4.0, s2
// CHECK: s_andn2_b32 s5, -4.0, s2                ; encoding: [0xf7,0x02,0x05,0x8a]

s_andn2_b32 s5, 0, s2
// CHECK: s_andn2_b32 s5, 0, s2                   ; encoding: [0x80,0x02,0x05,0x8a]

s_andn2_b32 s5, 0.5, s2
// CHECK: s_andn2_b32 s5, 0.5, s2                 ; encoding: [0xf0,0x02,0x05,0x8a]

s_andn2_b32 s5, 0x3f717273, s2
// CHECK: s_andn2_b32 s5, 0x3f717273, s2          ; encoding: [0xff,0x02,0x05,0x8a,0x73,0x72,0x71,0x3f]

s_andn2_b32 s5, 0xaf123456, s2
// CHECK: s_andn2_b32 s5, 0xaf123456, s2          ; encoding: [0xff,0x02,0x05,0x8a,0x56,0x34,0x12,0xaf]

s_andn2_b32 s5, exec_hi, s2
// CHECK: s_andn2_b32 s5, exec_hi, s2             ; encoding: [0x7f,0x02,0x05,0x8a]

s_andn2_b32 s5, exec_lo, s2
// CHECK: s_andn2_b32 s5, exec_lo, s2             ; encoding: [0x7e,0x02,0x05,0x8a]

s_andn2_b32 s5, flat_scratch_hi, s2
// CHECK: s_andn2_b32 s5, flat_scratch_hi, s2     ; encoding: [0x69,0x02,0x05,0x8a]

s_andn2_b32 s5, flat_scratch_lo, s2
// CHECK: s_andn2_b32 s5, flat_scratch_lo, s2     ; encoding: [0x68,0x02,0x05,0x8a]

s_andn2_b32 s5, m0, s2
// CHECK: s_andn2_b32 s5, m0, s2                  ; encoding: [0x7c,0x02,0x05,0x8a]

s_andn2_b32 s5, s1, -1
// CHECK: s_andn2_b32 s5, s1, -1                  ; encoding: [0x01,0xc1,0x05,0x8a]

s_andn2_b32 s5, s1, -4.0
// CHECK: s_andn2_b32 s5, s1, -4.0                ; encoding: [0x01,0xf7,0x05,0x8a]

s_andn2_b32 s5, s1, 0
// CHECK: s_andn2_b32 s5, s1, 0                   ; encoding: [0x01,0x80,0x05,0x8a]

s_andn2_b32 s5, s1, 0.5
// CHECK: s_andn2_b32 s5, s1, 0.5                 ; encoding: [0x01,0xf0,0x05,0x8a]

s_andn2_b32 s5, s1, 0x3f717273
// CHECK: s_andn2_b32 s5, s1, 0x3f717273          ; encoding: [0x01,0xff,0x05,0x8a,0x73,0x72,0x71,0x3f]

s_andn2_b32 s5, s1, 0xaf123456
// CHECK: s_andn2_b32 s5, s1, 0xaf123456          ; encoding: [0x01,0xff,0x05,0x8a,0x56,0x34,0x12,0xaf]

s_andn2_b32 s5, s1, exec_hi
// CHECK: s_andn2_b32 s5, s1, exec_hi             ; encoding: [0x01,0x7f,0x05,0x8a]

s_andn2_b32 s5, s1, exec_lo
// CHECK: s_andn2_b32 s5, s1, exec_lo             ; encoding: [0x01,0x7e,0x05,0x8a]

s_andn2_b32 s5, s1, flat_scratch_hi
// CHECK: s_andn2_b32 s5, s1, flat_scratch_hi     ; encoding: [0x01,0x69,0x05,0x8a]

s_andn2_b32 s5, s1, flat_scratch_lo
// CHECK: s_andn2_b32 s5, s1, flat_scratch_lo     ; encoding: [0x01,0x68,0x05,0x8a]

s_andn2_b32 s5, s1, m0
// CHECK: s_andn2_b32 s5, s1, m0                  ; encoding: [0x01,0x7c,0x05,0x8a]

s_andn2_b32 s5, s1, s103
// CHECK: s_andn2_b32 s5, s1, s103                ; encoding: [0x01,0x67,0x05,0x8a]

s_andn2_b32 s5, s1, s2
// CHECK: s_andn2_b32 s5, s1, s2                  ; encoding: [0x01,0x02,0x05,0x8a]

s_andn2_b32 s5, s1, src_execz
// CHECK: s_andn2_b32 s5, s1, src_execz           ; encoding: [0x01,0xfc,0x05,0x8a]

s_andn2_b32 s5, s1, src_scc
// CHECK: s_andn2_b32 s5, s1, src_scc             ; encoding: [0x01,0xfd,0x05,0x8a]

s_andn2_b32 s5, s1, src_vccz
// CHECK: s_andn2_b32 s5, s1, src_vccz            ; encoding: [0x01,0xfb,0x05,0x8a]

s_andn2_b32 s5, s1, tba_hi
// CHECK: s_andn2_b32 s5, s1, tba_hi              ; encoding: [0x01,0x6d,0x05,0x8a]

s_andn2_b32 s5, s1, tba_lo
// CHECK: s_andn2_b32 s5, s1, tba_lo              ; encoding: [0x01,0x6c,0x05,0x8a]

s_andn2_b32 s5, s1, tma_hi
// CHECK: s_andn2_b32 s5, s1, tma_hi              ; encoding: [0x01,0x6f,0x05,0x8a]

s_andn2_b32 s5, s1, tma_lo
// CHECK: s_andn2_b32 s5, s1, tma_lo              ; encoding: [0x01,0x6e,0x05,0x8a]

s_andn2_b32 s5, s1, ttmp11
// CHECK: s_andn2_b32 s5, s1, ttmp11              ; encoding: [0x01,0x7b,0x05,0x8a]

s_andn2_b32 s5, s1, vcc_hi
// CHECK: s_andn2_b32 s5, s1, vcc_hi              ; encoding: [0x01,0x6b,0x05,0x8a]

s_andn2_b32 s5, s1, vcc_lo
// CHECK: s_andn2_b32 s5, s1, vcc_lo              ; encoding: [0x01,0x6a,0x05,0x8a]

s_andn2_b32 s5, s103, s2
// CHECK: s_andn2_b32 s5, s103, s2                ; encoding: [0x67,0x02,0x05,0x8a]

s_andn2_b32 s5, src_execz, s2
// CHECK: s_andn2_b32 s5, src_execz, s2           ; encoding: [0xfc,0x02,0x05,0x8a]

s_andn2_b32 s5, src_scc, s2
// CHECK: s_andn2_b32 s5, src_scc, s2             ; encoding: [0xfd,0x02,0x05,0x8a]

s_andn2_b32 s5, src_vccz, s2
// CHECK: s_andn2_b32 s5, src_vccz, s2            ; encoding: [0xfb,0x02,0x05,0x8a]

s_andn2_b32 s5, tba_hi, s2
// CHECK: s_andn2_b32 s5, tba_hi, s2              ; encoding: [0x6d,0x02,0x05,0x8a]

s_andn2_b32 s5, tba_lo, s2
// CHECK: s_andn2_b32 s5, tba_lo, s2              ; encoding: [0x6c,0x02,0x05,0x8a]

s_andn2_b32 s5, tma_hi, s2
// CHECK: s_andn2_b32 s5, tma_hi, s2              ; encoding: [0x6f,0x02,0x05,0x8a]

s_andn2_b32 s5, tma_lo, s2
// CHECK: s_andn2_b32 s5, tma_lo, s2              ; encoding: [0x6e,0x02,0x05,0x8a]

s_andn2_b32 s5, ttmp11, s2
// CHECK: s_andn2_b32 s5, ttmp11, s2              ; encoding: [0x7b,0x02,0x05,0x8a]

s_andn2_b32 s5, vcc_hi, s2
// CHECK: s_andn2_b32 s5, vcc_hi, s2              ; encoding: [0x6b,0x02,0x05,0x8a]

s_andn2_b32 s5, vcc_lo, s2
// CHECK: s_andn2_b32 s5, vcc_lo, s2              ; encoding: [0x6a,0x02,0x05,0x8a]

s_andn2_b32 tba_hi, s1, s2
// CHECK: s_andn2_b32 tba_hi, s1, s2              ; encoding: [0x01,0x02,0x6d,0x8a]

s_andn2_b32 tba_lo, s1, s2
// CHECK: s_andn2_b32 tba_lo, s1, s2              ; encoding: [0x01,0x02,0x6c,0x8a]

s_andn2_b32 tma_hi, s1, s2
// CHECK: s_andn2_b32 tma_hi, s1, s2              ; encoding: [0x01,0x02,0x6f,0x8a]

s_andn2_b32 tma_lo, s1, s2
// CHECK: s_andn2_b32 tma_lo, s1, s2              ; encoding: [0x01,0x02,0x6e,0x8a]

s_andn2_b32 ttmp11, s1, s2
// CHECK: s_andn2_b32 ttmp11, s1, s2              ; encoding: [0x01,0x02,0x7b,0x8a]

s_andn2_b32 vcc_hi, s1, s2
// CHECK: s_andn2_b32 vcc_hi, s1, s2              ; encoding: [0x01,0x02,0x6b,0x8a]

s_andn2_b32 vcc_lo, s1, s2
// CHECK: s_andn2_b32 vcc_lo, s1, s2              ; encoding: [0x01,0x02,0x6a,0x8a]

s_andn2_b64 exec, s[2:3], s[4:5]
// CHECK: s_andn2_b64 exec, s[2:3], s[4:5]        ; encoding: [0x02,0x04,0xfe,0x8a]

s_andn2_b64 flat_scratch, s[2:3], s[4:5]
// CHECK: s_andn2_b64 flat_scratch, s[2:3], s[4:5] ; encoding: [0x02,0x04,0xe8,0x8a]

s_andn2_b64 s[102:103], s[2:3], s[4:5]
// CHECK: s_andn2_b64 s[102:103], s[2:3], s[4:5]  ; encoding: [0x02,0x04,0xe6,0x8a]

s_andn2_b64 s[10:11], -1, s[4:5]
// CHECK: s_andn2_b64 s[10:11], -1, s[4:5]        ; encoding: [0xc1,0x04,0x8a,0x8a]

s_andn2_b64 s[10:11], -4.0, s[4:5]
// CHECK: s_andn2_b64 s[10:11], -4.0, s[4:5]      ; encoding: [0xf7,0x04,0x8a,0x8a]

s_andn2_b64 s[10:11], 0, s[4:5]
// CHECK: s_andn2_b64 s[10:11], 0, s[4:5]         ; encoding: [0x80,0x04,0x8a,0x8a]

s_andn2_b64 s[10:11], 0.5, s[4:5]
// CHECK: s_andn2_b64 s[10:11], 0.5, s[4:5]       ; encoding: [0xf0,0x04,0x8a,0x8a]

s_andn2_b64 s[10:11], 0x3f717273, s[4:5]
// CHECK: s_andn2_b64 s[10:11], 0x3f717273, s[4:5] ; encoding: [0xff,0x04,0x8a,0x8a,0x73,0x72,0x71,0x3f]

s_andn2_b64 s[10:11], 0xaf123456, s[4:5]
// CHECK: s_andn2_b64 s[10:11], 0xaf123456, s[4:5] ; encoding: [0xff,0x04,0x8a,0x8a,0x56,0x34,0x12,0xaf]

s_andn2_b64 s[10:11], exec, s[4:5]
// CHECK: s_andn2_b64 s[10:11], exec, s[4:5]      ; encoding: [0x7e,0x04,0x8a,0x8a]

s_andn2_b64 s[10:11], flat_scratch, s[4:5]
// CHECK: s_andn2_b64 s[10:11], flat_scratch, s[4:5] ; encoding: [0x68,0x04,0x8a,0x8a]

s_andn2_b64 s[10:11], s[102:103], s[4:5]
// CHECK: s_andn2_b64 s[10:11], s[102:103], s[4:5] ; encoding: [0x66,0x04,0x8a,0x8a]

s_andn2_b64 s[10:11], s[2:3], -1
// CHECK: s_andn2_b64 s[10:11], s[2:3], -1        ; encoding: [0x02,0xc1,0x8a,0x8a]

s_andn2_b64 s[10:11], s[2:3], -4.0
// CHECK: s_andn2_b64 s[10:11], s[2:3], -4.0      ; encoding: [0x02,0xf7,0x8a,0x8a]

s_andn2_b64 s[10:11], s[2:3], 0
// CHECK: s_andn2_b64 s[10:11], s[2:3], 0         ; encoding: [0x02,0x80,0x8a,0x8a]

s_andn2_b64 s[10:11], s[2:3], 0.5
// CHECK: s_andn2_b64 s[10:11], s[2:3], 0.5       ; encoding: [0x02,0xf0,0x8a,0x8a]

s_andn2_b64 s[10:11], s[2:3], 0x3f717273
// CHECK: s_andn2_b64 s[10:11], s[2:3], 0x3f717273 ; encoding: [0x02,0xff,0x8a,0x8a,0x73,0x72,0x71,0x3f]

s_andn2_b64 s[10:11], s[2:3], 0xaf123456
// CHECK: s_andn2_b64 s[10:11], s[2:3], 0xaf123456 ; encoding: [0x02,0xff,0x8a,0x8a,0x56,0x34,0x12,0xaf]

s_andn2_b64 s[10:11], s[2:3], exec
// CHECK: s_andn2_b64 s[10:11], s[2:3], exec      ; encoding: [0x02,0x7e,0x8a,0x8a]

s_andn2_b64 s[10:11], s[2:3], flat_scratch
// CHECK: s_andn2_b64 s[10:11], s[2:3], flat_scratch ; encoding: [0x02,0x68,0x8a,0x8a]

s_andn2_b64 s[10:11], s[2:3], s[102:103]
// CHECK: s_andn2_b64 s[10:11], s[2:3], s[102:103] ; encoding: [0x02,0x66,0x8a,0x8a]

s_andn2_b64 s[10:11], s[2:3], s[4:5]
// CHECK: s_andn2_b64 s[10:11], s[2:3], s[4:5]    ; encoding: [0x02,0x04,0x8a,0x8a]

s_andn2_b64 s[10:11], s[2:3], s[6:7]
// CHECK: s_andn2_b64 s[10:11], s[2:3], s[6:7]    ; encoding: [0x02,0x06,0x8a,0x8a]

s_andn2_b64 s[10:11], s[2:3], src_execz
// CHECK: s_andn2_b64 s[10:11], s[2:3], src_execz ; encoding: [0x02,0xfc,0x8a,0x8a]

s_andn2_b64 s[10:11], s[2:3], src_scc
// CHECK: s_andn2_b64 s[10:11], s[2:3], src_scc   ; encoding: [0x02,0xfd,0x8a,0x8a]

s_andn2_b64 s[10:11], s[2:3], src_vccz
// CHECK: s_andn2_b64 s[10:11], s[2:3], src_vccz  ; encoding: [0x02,0xfb,0x8a,0x8a]

s_andn2_b64 s[10:11], s[2:3], tba
// CHECK: s_andn2_b64 s[10:11], s[2:3], tba       ; encoding: [0x02,0x6c,0x8a,0x8a]

s_andn2_b64 s[10:11], s[2:3], tma
// CHECK: s_andn2_b64 s[10:11], s[2:3], tma       ; encoding: [0x02,0x6e,0x8a,0x8a]

s_andn2_b64 s[10:11], s[2:3], ttmp[10:11]
// CHECK: s_andn2_b64 s[10:11], s[2:3], ttmp[10:11] ; encoding: [0x02,0x7a,0x8a,0x8a]

s_andn2_b64 s[10:11], s[2:3], vcc
// CHECK: s_andn2_b64 s[10:11], s[2:3], vcc       ; encoding: [0x02,0x6a,0x8a,0x8a]

s_andn2_b64 s[10:11], s[4:5], s[4:5]
// CHECK: s_andn2_b64 s[10:11], s[4:5], s[4:5]    ; encoding: [0x04,0x04,0x8a,0x8a]

s_andn2_b64 s[10:11], src_execz, s[4:5]
// CHECK: s_andn2_b64 s[10:11], src_execz, s[4:5] ; encoding: [0xfc,0x04,0x8a,0x8a]

s_andn2_b64 s[10:11], src_scc, s[4:5]
// CHECK: s_andn2_b64 s[10:11], src_scc, s[4:5]   ; encoding: [0xfd,0x04,0x8a,0x8a]

s_andn2_b64 s[10:11], src_vccz, s[4:5]
// CHECK: s_andn2_b64 s[10:11], src_vccz, s[4:5]  ; encoding: [0xfb,0x04,0x8a,0x8a]

s_andn2_b64 s[10:11], tba, s[4:5]
// CHECK: s_andn2_b64 s[10:11], tba, s[4:5]       ; encoding: [0x6c,0x04,0x8a,0x8a]

s_andn2_b64 s[10:11], tma, s[4:5]
// CHECK: s_andn2_b64 s[10:11], tma, s[4:5]       ; encoding: [0x6e,0x04,0x8a,0x8a]

s_andn2_b64 s[10:11], ttmp[10:11], s[4:5]
// CHECK: s_andn2_b64 s[10:11], ttmp[10:11], s[4:5] ; encoding: [0x7a,0x04,0x8a,0x8a]

s_andn2_b64 s[10:11], vcc, s[4:5]
// CHECK: s_andn2_b64 s[10:11], vcc, s[4:5]       ; encoding: [0x6a,0x04,0x8a,0x8a]

s_andn2_b64 s[12:13], s[2:3], s[4:5]
// CHECK: s_andn2_b64 s[12:13], s[2:3], s[4:5]    ; encoding: [0x02,0x04,0x8c,0x8a]

s_andn2_b64 tba, s[2:3], s[4:5]
// CHECK: s_andn2_b64 tba, s[2:3], s[4:5]         ; encoding: [0x02,0x04,0xec,0x8a]

s_andn2_b64 tma, s[2:3], s[4:5]
// CHECK: s_andn2_b64 tma, s[2:3], s[4:5]         ; encoding: [0x02,0x04,0xee,0x8a]

s_andn2_b64 ttmp[10:11], s[2:3], s[4:5]
// CHECK: s_andn2_b64 ttmp[10:11], s[2:3], s[4:5] ; encoding: [0x02,0x04,0xfa,0x8a]

s_andn2_b64 vcc, s[2:3], s[4:5]
// CHECK: s_andn2_b64 vcc, s[2:3], s[4:5]         ; encoding: [0x02,0x04,0xea,0x8a]

s_ashr_i32 exec_hi, s1, s2
// CHECK: s_ashr_i32 exec_hi, s1, s2              ; encoding: [0x01,0x02,0x7f,0x91]

s_ashr_i32 exec_lo, s1, s2
// CHECK: s_ashr_i32 exec_lo, s1, s2              ; encoding: [0x01,0x02,0x7e,0x91]

s_ashr_i32 flat_scratch_hi, s1, s2
// CHECK: s_ashr_i32 flat_scratch_hi, s1, s2      ; encoding: [0x01,0x02,0x69,0x91]

s_ashr_i32 flat_scratch_lo, s1, s2
// CHECK: s_ashr_i32 flat_scratch_lo, s1, s2      ; encoding: [0x01,0x02,0x68,0x91]

s_ashr_i32 m0, s1, s2
// CHECK: s_ashr_i32 m0, s1, s2                   ; encoding: [0x01,0x02,0x7c,0x91]

s_ashr_i32 s103, s1, s2
// CHECK: s_ashr_i32 s103, s1, s2                 ; encoding: [0x01,0x02,0x67,0x91]

s_ashr_i32 s5, -1, s2
// CHECK: s_ashr_i32 s5, -1, s2                   ; encoding: [0xc1,0x02,0x05,0x91]

s_ashr_i32 s5, -4.0, s2
// CHECK: s_ashr_i32 s5, -4.0, s2                 ; encoding: [0xf7,0x02,0x05,0x91]

s_ashr_i32 s5, 0, s2
// CHECK: s_ashr_i32 s5, 0, s2                    ; encoding: [0x80,0x02,0x05,0x91]

s_ashr_i32 s5, 0.5, s2
// CHECK: s_ashr_i32 s5, 0.5, s2                  ; encoding: [0xf0,0x02,0x05,0x91]

s_ashr_i32 s5, 0x3f717273, s2
// CHECK: s_ashr_i32 s5, 0x3f717273, s2           ; encoding: [0xff,0x02,0x05,0x91,0x73,0x72,0x71,0x3f]

s_ashr_i32 s5, 0xaf123456, s2
// CHECK: s_ashr_i32 s5, 0xaf123456, s2           ; encoding: [0xff,0x02,0x05,0x91,0x56,0x34,0x12,0xaf]

s_ashr_i32 s5, exec_hi, s2
// CHECK: s_ashr_i32 s5, exec_hi, s2              ; encoding: [0x7f,0x02,0x05,0x91]

s_ashr_i32 s5, exec_lo, s2
// CHECK: s_ashr_i32 s5, exec_lo, s2              ; encoding: [0x7e,0x02,0x05,0x91]

s_ashr_i32 s5, flat_scratch_hi, s2
// CHECK: s_ashr_i32 s5, flat_scratch_hi, s2      ; encoding: [0x69,0x02,0x05,0x91]

s_ashr_i32 s5, flat_scratch_lo, s2
// CHECK: s_ashr_i32 s5, flat_scratch_lo, s2      ; encoding: [0x68,0x02,0x05,0x91]

s_ashr_i32 s5, m0, s2
// CHECK: s_ashr_i32 s5, m0, s2                   ; encoding: [0x7c,0x02,0x05,0x91]

s_ashr_i32 s5, s1, -1
// CHECK: s_ashr_i32 s5, s1, -1                   ; encoding: [0x01,0xc1,0x05,0x91]

s_ashr_i32 s5, s1, -4.0
// CHECK: s_ashr_i32 s5, s1, -4.0                 ; encoding: [0x01,0xf7,0x05,0x91]

s_ashr_i32 s5, s1, 0
// CHECK: s_ashr_i32 s5, s1, 0                    ; encoding: [0x01,0x80,0x05,0x91]

s_ashr_i32 s5, s1, 0.5
// CHECK: s_ashr_i32 s5, s1, 0.5                  ; encoding: [0x01,0xf0,0x05,0x91]

s_ashr_i32 s5, s1, 0x3f717273
// CHECK: s_ashr_i32 s5, s1, 0x3f717273           ; encoding: [0x01,0xff,0x05,0x91,0x73,0x72,0x71,0x3f]

s_ashr_i32 s5, s1, 0xaf123456
// CHECK: s_ashr_i32 s5, s1, 0xaf123456           ; encoding: [0x01,0xff,0x05,0x91,0x56,0x34,0x12,0xaf]

s_ashr_i32 s5, s1, exec_hi
// CHECK: s_ashr_i32 s5, s1, exec_hi              ; encoding: [0x01,0x7f,0x05,0x91]

s_ashr_i32 s5, s1, exec_lo
// CHECK: s_ashr_i32 s5, s1, exec_lo              ; encoding: [0x01,0x7e,0x05,0x91]

s_ashr_i32 s5, s1, flat_scratch_hi
// CHECK: s_ashr_i32 s5, s1, flat_scratch_hi      ; encoding: [0x01,0x69,0x05,0x91]

s_ashr_i32 s5, s1, flat_scratch_lo
// CHECK: s_ashr_i32 s5, s1, flat_scratch_lo      ; encoding: [0x01,0x68,0x05,0x91]

s_ashr_i32 s5, s1, m0
// CHECK: s_ashr_i32 s5, s1, m0                   ; encoding: [0x01,0x7c,0x05,0x91]

s_ashr_i32 s5, s1, s103
// CHECK: s_ashr_i32 s5, s1, s103                 ; encoding: [0x01,0x67,0x05,0x91]

s_ashr_i32 s5, s1, s2
// CHECK: s_ashr_i32 s5, s1, s2                   ; encoding: [0x01,0x02,0x05,0x91]

s_ashr_i32 s5, s1, src_execz
// CHECK: s_ashr_i32 s5, s1, src_execz            ; encoding: [0x01,0xfc,0x05,0x91]

s_ashr_i32 s5, s1, src_scc
// CHECK: s_ashr_i32 s5, s1, src_scc              ; encoding: [0x01,0xfd,0x05,0x91]

s_ashr_i32 s5, s1, src_vccz
// CHECK: s_ashr_i32 s5, s1, src_vccz             ; encoding: [0x01,0xfb,0x05,0x91]

s_ashr_i32 s5, s1, tba_hi
// CHECK: s_ashr_i32 s5, s1, tba_hi               ; encoding: [0x01,0x6d,0x05,0x91]

s_ashr_i32 s5, s1, tba_lo
// CHECK: s_ashr_i32 s5, s1, tba_lo               ; encoding: [0x01,0x6c,0x05,0x91]

s_ashr_i32 s5, s1, tma_hi
// CHECK: s_ashr_i32 s5, s1, tma_hi               ; encoding: [0x01,0x6f,0x05,0x91]

s_ashr_i32 s5, s1, tma_lo
// CHECK: s_ashr_i32 s5, s1, tma_lo               ; encoding: [0x01,0x6e,0x05,0x91]

s_ashr_i32 s5, s1, ttmp11
// CHECK: s_ashr_i32 s5, s1, ttmp11               ; encoding: [0x01,0x7b,0x05,0x91]

s_ashr_i32 s5, s1, vcc_hi
// CHECK: s_ashr_i32 s5, s1, vcc_hi               ; encoding: [0x01,0x6b,0x05,0x91]

s_ashr_i32 s5, s1, vcc_lo
// CHECK: s_ashr_i32 s5, s1, vcc_lo               ; encoding: [0x01,0x6a,0x05,0x91]

s_ashr_i32 s5, s103, s2
// CHECK: s_ashr_i32 s5, s103, s2                 ; encoding: [0x67,0x02,0x05,0x91]

s_ashr_i32 s5, src_execz, s2
// CHECK: s_ashr_i32 s5, src_execz, s2            ; encoding: [0xfc,0x02,0x05,0x91]

s_ashr_i32 s5, src_scc, s2
// CHECK: s_ashr_i32 s5, src_scc, s2              ; encoding: [0xfd,0x02,0x05,0x91]

s_ashr_i32 s5, src_vccz, s2
// CHECK: s_ashr_i32 s5, src_vccz, s2             ; encoding: [0xfb,0x02,0x05,0x91]

s_ashr_i32 s5, tba_hi, s2
// CHECK: s_ashr_i32 s5, tba_hi, s2               ; encoding: [0x6d,0x02,0x05,0x91]

s_ashr_i32 s5, tba_lo, s2
// CHECK: s_ashr_i32 s5, tba_lo, s2               ; encoding: [0x6c,0x02,0x05,0x91]

s_ashr_i32 s5, tma_hi, s2
// CHECK: s_ashr_i32 s5, tma_hi, s2               ; encoding: [0x6f,0x02,0x05,0x91]

s_ashr_i32 s5, tma_lo, s2
// CHECK: s_ashr_i32 s5, tma_lo, s2               ; encoding: [0x6e,0x02,0x05,0x91]

s_ashr_i32 s5, ttmp11, s2
// CHECK: s_ashr_i32 s5, ttmp11, s2               ; encoding: [0x7b,0x02,0x05,0x91]

s_ashr_i32 s5, vcc_hi, s2
// CHECK: s_ashr_i32 s5, vcc_hi, s2               ; encoding: [0x6b,0x02,0x05,0x91]

s_ashr_i32 s5, vcc_lo, s2
// CHECK: s_ashr_i32 s5, vcc_lo, s2               ; encoding: [0x6a,0x02,0x05,0x91]

s_ashr_i32 tba_hi, s1, s2
// CHECK: s_ashr_i32 tba_hi, s1, s2               ; encoding: [0x01,0x02,0x6d,0x91]

s_ashr_i32 tba_lo, s1, s2
// CHECK: s_ashr_i32 tba_lo, s1, s2               ; encoding: [0x01,0x02,0x6c,0x91]

s_ashr_i32 tma_hi, s1, s2
// CHECK: s_ashr_i32 tma_hi, s1, s2               ; encoding: [0x01,0x02,0x6f,0x91]

s_ashr_i32 tma_lo, s1, s2
// CHECK: s_ashr_i32 tma_lo, s1, s2               ; encoding: [0x01,0x02,0x6e,0x91]

s_ashr_i32 ttmp11, s1, s2
// CHECK: s_ashr_i32 ttmp11, s1, s2               ; encoding: [0x01,0x02,0x7b,0x91]

s_ashr_i32 vcc_hi, s1, s2
// CHECK: s_ashr_i32 vcc_hi, s1, s2               ; encoding: [0x01,0x02,0x6b,0x91]

s_ashr_i32 vcc_lo, s1, s2
// CHECK: s_ashr_i32 vcc_lo, s1, s2               ; encoding: [0x01,0x02,0x6a,0x91]

s_ashr_i64 exec, s[2:3], s2
// CHECK: s_ashr_i64 exec, s[2:3], s2             ; encoding: [0x02,0x02,0xfe,0x91]

s_ashr_i64 flat_scratch, s[2:3], s2
// CHECK: s_ashr_i64 flat_scratch, s[2:3], s2     ; encoding: [0x02,0x02,0xe8,0x91]

s_ashr_i64 s[102:103], s[2:3], s2
// CHECK: s_ashr_i64 s[102:103], s[2:3], s2       ; encoding: [0x02,0x02,0xe6,0x91]

s_ashr_i64 s[10:11], -1, s2
// CHECK: s_ashr_i64 s[10:11], -1, s2             ; encoding: [0xc1,0x02,0x8a,0x91]

s_ashr_i64 s[10:11], -4.0, s2
// CHECK: s_ashr_i64 s[10:11], -4.0, s2           ; encoding: [0xf7,0x02,0x8a,0x91]

s_ashr_i64 s[10:11], 0, s2
// CHECK: s_ashr_i64 s[10:11], 0, s2              ; encoding: [0x80,0x02,0x8a,0x91]

s_ashr_i64 s[10:11], 0.5, s2
// CHECK: s_ashr_i64 s[10:11], 0.5, s2            ; encoding: [0xf0,0x02,0x8a,0x91]

s_ashr_i64 s[10:11], 0x3f717273, s2
// CHECK: s_ashr_i64 s[10:11], 0x3f717273, s2     ; encoding: [0xff,0x02,0x8a,0x91,0x73,0x72,0x71,0x3f]

s_ashr_i64 s[10:11], 0xaf123456, s2
// CHECK: s_ashr_i64 s[10:11], 0xaf123456, s2     ; encoding: [0xff,0x02,0x8a,0x91,0x56,0x34,0x12,0xaf]

s_ashr_i64 s[10:11], exec, s2
// CHECK: s_ashr_i64 s[10:11], exec, s2           ; encoding: [0x7e,0x02,0x8a,0x91]

s_ashr_i64 s[10:11], flat_scratch, s2
// CHECK: s_ashr_i64 s[10:11], flat_scratch, s2   ; encoding: [0x68,0x02,0x8a,0x91]

s_ashr_i64 s[10:11], s[102:103], s2
// CHECK: s_ashr_i64 s[10:11], s[102:103], s2     ; encoding: [0x66,0x02,0x8a,0x91]

s_ashr_i64 s[10:11], s[2:3], -1
// CHECK: s_ashr_i64 s[10:11], s[2:3], -1         ; encoding: [0x02,0xc1,0x8a,0x91]

s_ashr_i64 s[10:11], s[2:3], -4.0
// CHECK: s_ashr_i64 s[10:11], s[2:3], -4.0       ; encoding: [0x02,0xf7,0x8a,0x91]

s_ashr_i64 s[10:11], s[2:3], 0
// CHECK: s_ashr_i64 s[10:11], s[2:3], 0          ; encoding: [0x02,0x80,0x8a,0x91]

s_ashr_i64 s[10:11], s[2:3], 0.5
// CHECK: s_ashr_i64 s[10:11], s[2:3], 0.5        ; encoding: [0x02,0xf0,0x8a,0x91]

s_ashr_i64 s[10:11], s[2:3], 0x3f717273
// CHECK: s_ashr_i64 s[10:11], s[2:3], 0x3f717273 ; encoding: [0x02,0xff,0x8a,0x91,0x73,0x72,0x71,0x3f]

s_ashr_i64 s[10:11], s[2:3], 0xaf123456
// CHECK: s_ashr_i64 s[10:11], s[2:3], 0xaf123456 ; encoding: [0x02,0xff,0x8a,0x91,0x56,0x34,0x12,0xaf]

s_ashr_i64 s[10:11], s[2:3], exec_hi
// CHECK: s_ashr_i64 s[10:11], s[2:3], exec_hi    ; encoding: [0x02,0x7f,0x8a,0x91]

s_ashr_i64 s[10:11], s[2:3], exec_lo
// CHECK: s_ashr_i64 s[10:11], s[2:3], exec_lo    ; encoding: [0x02,0x7e,0x8a,0x91]

s_ashr_i64 s[10:11], s[2:3], flat_scratch_hi
// CHECK: s_ashr_i64 s[10:11], s[2:3], flat_scratch_hi ; encoding: [0x02,0x69,0x8a,0x91]

s_ashr_i64 s[10:11], s[2:3], flat_scratch_lo
// CHECK: s_ashr_i64 s[10:11], s[2:3], flat_scratch_lo ; encoding: [0x02,0x68,0x8a,0x91]

s_ashr_i64 s[10:11], s[2:3], m0
// CHECK: s_ashr_i64 s[10:11], s[2:3], m0         ; encoding: [0x02,0x7c,0x8a,0x91]

s_ashr_i64 s[10:11], s[2:3], s103
// CHECK: s_ashr_i64 s[10:11], s[2:3], s103       ; encoding: [0x02,0x67,0x8a,0x91]

s_ashr_i64 s[10:11], s[2:3], s2
// CHECK: s_ashr_i64 s[10:11], s[2:3], s2         ; encoding: [0x02,0x02,0x8a,0x91]

s_ashr_i64 s[10:11], s[2:3], src_execz
// CHECK: s_ashr_i64 s[10:11], s[2:3], src_execz  ; encoding: [0x02,0xfc,0x8a,0x91]

s_ashr_i64 s[10:11], s[2:3], src_scc
// CHECK: s_ashr_i64 s[10:11], s[2:3], src_scc    ; encoding: [0x02,0xfd,0x8a,0x91]

s_ashr_i64 s[10:11], s[2:3], src_vccz
// CHECK: s_ashr_i64 s[10:11], s[2:3], src_vccz   ; encoding: [0x02,0xfb,0x8a,0x91]

s_ashr_i64 s[10:11], s[2:3], tba_hi
// CHECK: s_ashr_i64 s[10:11], s[2:3], tba_hi     ; encoding: [0x02,0x6d,0x8a,0x91]

s_ashr_i64 s[10:11], s[2:3], tba_lo
// CHECK: s_ashr_i64 s[10:11], s[2:3], tba_lo     ; encoding: [0x02,0x6c,0x8a,0x91]

s_ashr_i64 s[10:11], s[2:3], tma_hi
// CHECK: s_ashr_i64 s[10:11], s[2:3], tma_hi     ; encoding: [0x02,0x6f,0x8a,0x91]

s_ashr_i64 s[10:11], s[2:3], tma_lo
// CHECK: s_ashr_i64 s[10:11], s[2:3], tma_lo     ; encoding: [0x02,0x6e,0x8a,0x91]

s_ashr_i64 s[10:11], s[2:3], ttmp11
// CHECK: s_ashr_i64 s[10:11], s[2:3], ttmp11     ; encoding: [0x02,0x7b,0x8a,0x91]

s_ashr_i64 s[10:11], s[2:3], vcc_hi
// CHECK: s_ashr_i64 s[10:11], s[2:3], vcc_hi     ; encoding: [0x02,0x6b,0x8a,0x91]

s_ashr_i64 s[10:11], s[2:3], vcc_lo
// CHECK: s_ashr_i64 s[10:11], s[2:3], vcc_lo     ; encoding: [0x02,0x6a,0x8a,0x91]

s_ashr_i64 s[10:11], s[4:5], s2
// CHECK: s_ashr_i64 s[10:11], s[4:5], s2         ; encoding: [0x04,0x02,0x8a,0x91]

s_ashr_i64 s[10:11], src_execz, s2
// CHECK: s_ashr_i64 s[10:11], src_execz, s2      ; encoding: [0xfc,0x02,0x8a,0x91]

s_ashr_i64 s[10:11], src_scc, s2
// CHECK: s_ashr_i64 s[10:11], src_scc, s2        ; encoding: [0xfd,0x02,0x8a,0x91]

s_ashr_i64 s[10:11], src_vccz, s2
// CHECK: s_ashr_i64 s[10:11], src_vccz, s2       ; encoding: [0xfb,0x02,0x8a,0x91]

s_ashr_i64 s[10:11], tba, s2
// CHECK: s_ashr_i64 s[10:11], tba, s2            ; encoding: [0x6c,0x02,0x8a,0x91]

s_ashr_i64 s[10:11], tma, s2
// CHECK: s_ashr_i64 s[10:11], tma, s2            ; encoding: [0x6e,0x02,0x8a,0x91]

s_ashr_i64 s[10:11], ttmp[10:11], s2
// CHECK: s_ashr_i64 s[10:11], ttmp[10:11], s2    ; encoding: [0x7a,0x02,0x8a,0x91]

s_ashr_i64 s[10:11], vcc, s2
// CHECK: s_ashr_i64 s[10:11], vcc, s2            ; encoding: [0x6a,0x02,0x8a,0x91]

s_ashr_i64 s[12:13], s[2:3], s2
// CHECK: s_ashr_i64 s[12:13], s[2:3], s2         ; encoding: [0x02,0x02,0x8c,0x91]

s_ashr_i64 tba, s[2:3], s2
// CHECK: s_ashr_i64 tba, s[2:3], s2              ; encoding: [0x02,0x02,0xec,0x91]

s_ashr_i64 tma, s[2:3], s2
// CHECK: s_ashr_i64 tma, s[2:3], s2              ; encoding: [0x02,0x02,0xee,0x91]

s_ashr_i64 ttmp[10:11], s[2:3], s2
// CHECK: s_ashr_i64 ttmp[10:11], s[2:3], s2      ; encoding: [0x02,0x02,0xfa,0x91]

s_ashr_i64 vcc, s[2:3], s2
// CHECK: s_ashr_i64 vcc, s[2:3], s2              ; encoding: [0x02,0x02,0xea,0x91]

s_bfe_i32 exec_hi, s1, s2
// CHECK: s_bfe_i32 exec_hi, s1, s2               ; encoding: [0x01,0x02,0x7f,0x94]

s_bfe_i32 exec_lo, s1, s2
// CHECK: s_bfe_i32 exec_lo, s1, s2               ; encoding: [0x01,0x02,0x7e,0x94]

s_bfe_i32 flat_scratch_hi, s1, s2
// CHECK: s_bfe_i32 flat_scratch_hi, s1, s2       ; encoding: [0x01,0x02,0x69,0x94]

s_bfe_i32 flat_scratch_lo, s1, s2
// CHECK: s_bfe_i32 flat_scratch_lo, s1, s2       ; encoding: [0x01,0x02,0x68,0x94]

s_bfe_i32 m0, s1, s2
// CHECK: s_bfe_i32 m0, s1, s2                    ; encoding: [0x01,0x02,0x7c,0x94]

s_bfe_i32 s103, s1, s2
// CHECK: s_bfe_i32 s103, s1, s2                  ; encoding: [0x01,0x02,0x67,0x94]

s_bfe_i32 s5, -1, s2
// CHECK: s_bfe_i32 s5, -1, s2                    ; encoding: [0xc1,0x02,0x05,0x94]

s_bfe_i32 s5, -4.0, s2
// CHECK: s_bfe_i32 s5, -4.0, s2                  ; encoding: [0xf7,0x02,0x05,0x94]

s_bfe_i32 s5, 0, s2
// CHECK: s_bfe_i32 s5, 0, s2                     ; encoding: [0x80,0x02,0x05,0x94]

s_bfe_i32 s5, 0.5, s2
// CHECK: s_bfe_i32 s5, 0.5, s2                   ; encoding: [0xf0,0x02,0x05,0x94]

s_bfe_i32 s5, 0x3f717273, s2
// CHECK: s_bfe_i32 s5, 0x3f717273, s2            ; encoding: [0xff,0x02,0x05,0x94,0x73,0x72,0x71,0x3f]

s_bfe_i32 s5, 0xaf123456, s2
// CHECK: s_bfe_i32 s5, 0xaf123456, s2            ; encoding: [0xff,0x02,0x05,0x94,0x56,0x34,0x12,0xaf]

s_bfe_i32 s5, exec_hi, s2
// CHECK: s_bfe_i32 s5, exec_hi, s2               ; encoding: [0x7f,0x02,0x05,0x94]

s_bfe_i32 s5, exec_lo, s2
// CHECK: s_bfe_i32 s5, exec_lo, s2               ; encoding: [0x7e,0x02,0x05,0x94]

s_bfe_i32 s5, flat_scratch_hi, s2
// CHECK: s_bfe_i32 s5, flat_scratch_hi, s2       ; encoding: [0x69,0x02,0x05,0x94]

s_bfe_i32 s5, flat_scratch_lo, s2
// CHECK: s_bfe_i32 s5, flat_scratch_lo, s2       ; encoding: [0x68,0x02,0x05,0x94]

s_bfe_i32 s5, m0, s2
// CHECK: s_bfe_i32 s5, m0, s2                    ; encoding: [0x7c,0x02,0x05,0x94]

s_bfe_i32 s5, s1, -1
// CHECK: s_bfe_i32 s5, s1, -1                    ; encoding: [0x01,0xc1,0x05,0x94]

s_bfe_i32 s5, s1, -4.0
// CHECK: s_bfe_i32 s5, s1, -4.0                  ; encoding: [0x01,0xf7,0x05,0x94]

s_bfe_i32 s5, s1, 0
// CHECK: s_bfe_i32 s5, s1, 0                     ; encoding: [0x01,0x80,0x05,0x94]

s_bfe_i32 s5, s1, 0.5
// CHECK: s_bfe_i32 s5, s1, 0.5                   ; encoding: [0x01,0xf0,0x05,0x94]

s_bfe_i32 s5, s1, 0x3f717273
// CHECK: s_bfe_i32 s5, s1, 0x3f717273            ; encoding: [0x01,0xff,0x05,0x94,0x73,0x72,0x71,0x3f]

s_bfe_i32 s5, s1, 0xaf123456
// CHECK: s_bfe_i32 s5, s1, 0xaf123456            ; encoding: [0x01,0xff,0x05,0x94,0x56,0x34,0x12,0xaf]

s_bfe_i32 s5, s1, exec_hi
// CHECK: s_bfe_i32 s5, s1, exec_hi               ; encoding: [0x01,0x7f,0x05,0x94]

s_bfe_i32 s5, s1, exec_lo
// CHECK: s_bfe_i32 s5, s1, exec_lo               ; encoding: [0x01,0x7e,0x05,0x94]

s_bfe_i32 s5, s1, flat_scratch_hi
// CHECK: s_bfe_i32 s5, s1, flat_scratch_hi       ; encoding: [0x01,0x69,0x05,0x94]

s_bfe_i32 s5, s1, flat_scratch_lo
// CHECK: s_bfe_i32 s5, s1, flat_scratch_lo       ; encoding: [0x01,0x68,0x05,0x94]

s_bfe_i32 s5, s1, m0
// CHECK: s_bfe_i32 s5, s1, m0                    ; encoding: [0x01,0x7c,0x05,0x94]

s_bfe_i32 s5, s1, s103
// CHECK: s_bfe_i32 s5, s1, s103                  ; encoding: [0x01,0x67,0x05,0x94]

s_bfe_i32 s5, s1, s2
// CHECK: s_bfe_i32 s5, s1, s2                    ; encoding: [0x01,0x02,0x05,0x94]

s_bfe_i32 s5, s1, src_execz
// CHECK: s_bfe_i32 s5, s1, src_execz             ; encoding: [0x01,0xfc,0x05,0x94]

s_bfe_i32 s5, s1, src_scc
// CHECK: s_bfe_i32 s5, s1, src_scc               ; encoding: [0x01,0xfd,0x05,0x94]

s_bfe_i32 s5, s1, src_vccz
// CHECK: s_bfe_i32 s5, s1, src_vccz              ; encoding: [0x01,0xfb,0x05,0x94]

s_bfe_i32 s5, s1, tba_hi
// CHECK: s_bfe_i32 s5, s1, tba_hi                ; encoding: [0x01,0x6d,0x05,0x94]

s_bfe_i32 s5, s1, tba_lo
// CHECK: s_bfe_i32 s5, s1, tba_lo                ; encoding: [0x01,0x6c,0x05,0x94]

s_bfe_i32 s5, s1, tma_hi
// CHECK: s_bfe_i32 s5, s1, tma_hi                ; encoding: [0x01,0x6f,0x05,0x94]

s_bfe_i32 s5, s1, tma_lo
// CHECK: s_bfe_i32 s5, s1, tma_lo                ; encoding: [0x01,0x6e,0x05,0x94]

s_bfe_i32 s5, s1, ttmp11
// CHECK: s_bfe_i32 s5, s1, ttmp11                ; encoding: [0x01,0x7b,0x05,0x94]

s_bfe_i32 s5, s1, vcc_hi
// CHECK: s_bfe_i32 s5, s1, vcc_hi                ; encoding: [0x01,0x6b,0x05,0x94]

s_bfe_i32 s5, s1, vcc_lo
// CHECK: s_bfe_i32 s5, s1, vcc_lo                ; encoding: [0x01,0x6a,0x05,0x94]

s_bfe_i32 s5, s103, s2
// CHECK: s_bfe_i32 s5, s103, s2                  ; encoding: [0x67,0x02,0x05,0x94]

s_bfe_i32 s5, src_execz, s2
// CHECK: s_bfe_i32 s5, src_execz, s2             ; encoding: [0xfc,0x02,0x05,0x94]

s_bfe_i32 s5, src_scc, s2
// CHECK: s_bfe_i32 s5, src_scc, s2               ; encoding: [0xfd,0x02,0x05,0x94]

s_bfe_i32 s5, src_vccz, s2
// CHECK: s_bfe_i32 s5, src_vccz, s2              ; encoding: [0xfb,0x02,0x05,0x94]

s_bfe_i32 s5, tba_hi, s2
// CHECK: s_bfe_i32 s5, tba_hi, s2                ; encoding: [0x6d,0x02,0x05,0x94]

s_bfe_i32 s5, tba_lo, s2
// CHECK: s_bfe_i32 s5, tba_lo, s2                ; encoding: [0x6c,0x02,0x05,0x94]

s_bfe_i32 s5, tma_hi, s2
// CHECK: s_bfe_i32 s5, tma_hi, s2                ; encoding: [0x6f,0x02,0x05,0x94]

s_bfe_i32 s5, tma_lo, s2
// CHECK: s_bfe_i32 s5, tma_lo, s2                ; encoding: [0x6e,0x02,0x05,0x94]

s_bfe_i32 s5, ttmp11, s2
// CHECK: s_bfe_i32 s5, ttmp11, s2                ; encoding: [0x7b,0x02,0x05,0x94]

s_bfe_i32 s5, vcc_hi, s2
// CHECK: s_bfe_i32 s5, vcc_hi, s2                ; encoding: [0x6b,0x02,0x05,0x94]

s_bfe_i32 s5, vcc_lo, s2
// CHECK: s_bfe_i32 s5, vcc_lo, s2                ; encoding: [0x6a,0x02,0x05,0x94]

s_bfe_i32 tba_hi, s1, s2
// CHECK: s_bfe_i32 tba_hi, s1, s2                ; encoding: [0x01,0x02,0x6d,0x94]

s_bfe_i32 tba_lo, s1, s2
// CHECK: s_bfe_i32 tba_lo, s1, s2                ; encoding: [0x01,0x02,0x6c,0x94]

s_bfe_i32 tma_hi, s1, s2
// CHECK: s_bfe_i32 tma_hi, s1, s2                ; encoding: [0x01,0x02,0x6f,0x94]

s_bfe_i32 tma_lo, s1, s2
// CHECK: s_bfe_i32 tma_lo, s1, s2                ; encoding: [0x01,0x02,0x6e,0x94]

s_bfe_i32 ttmp11, s1, s2
// CHECK: s_bfe_i32 ttmp11, s1, s2                ; encoding: [0x01,0x02,0x7b,0x94]

s_bfe_i32 vcc_hi, s1, s2
// CHECK: s_bfe_i32 vcc_hi, s1, s2                ; encoding: [0x01,0x02,0x6b,0x94]

s_bfe_i32 vcc_lo, s1, s2
// CHECK: s_bfe_i32 vcc_lo, s1, s2                ; encoding: [0x01,0x02,0x6a,0x94]

s_bfe_i64 exec, s[2:3], s2
// CHECK: s_bfe_i64 exec, s[2:3], s2              ; encoding: [0x02,0x02,0x7e,0x95]

s_bfe_i64 flat_scratch, s[2:3], s2
// CHECK: s_bfe_i64 flat_scratch, s[2:3], s2      ; encoding: [0x02,0x02,0x68,0x95]

s_bfe_i64 s[102:103], s[2:3], s2
// CHECK: s_bfe_i64 s[102:103], s[2:3], s2        ; encoding: [0x02,0x02,0x66,0x95]

s_bfe_i64 s[10:11], -1, s2
// CHECK: s_bfe_i64 s[10:11], -1, s2              ; encoding: [0xc1,0x02,0x0a,0x95]

s_bfe_i64 s[10:11], -4.0, s2
// CHECK: s_bfe_i64 s[10:11], -4.0, s2            ; encoding: [0xf7,0x02,0x0a,0x95]

s_bfe_i64 s[10:11], 0, s2
// CHECK: s_bfe_i64 s[10:11], 0, s2               ; encoding: [0x80,0x02,0x0a,0x95]

s_bfe_i64 s[10:11], 0.5, s2
// CHECK: s_bfe_i64 s[10:11], 0.5, s2             ; encoding: [0xf0,0x02,0x0a,0x95]

s_bfe_i64 s[10:11], 0x3f717273, s2
// CHECK: s_bfe_i64 s[10:11], 0x3f717273, s2      ; encoding: [0xff,0x02,0x0a,0x95,0x73,0x72,0x71,0x3f]

s_bfe_i64 s[10:11], 0xaf123456, s2
// CHECK: s_bfe_i64 s[10:11], 0xaf123456, s2      ; encoding: [0xff,0x02,0x0a,0x95,0x56,0x34,0x12,0xaf]

s_bfe_i64 s[10:11], exec, s2
// CHECK: s_bfe_i64 s[10:11], exec, s2            ; encoding: [0x7e,0x02,0x0a,0x95]

s_bfe_i64 s[10:11], flat_scratch, s2
// CHECK: s_bfe_i64 s[10:11], flat_scratch, s2    ; encoding: [0x68,0x02,0x0a,0x95]

s_bfe_i64 s[10:11], s[102:103], s2
// CHECK: s_bfe_i64 s[10:11], s[102:103], s2      ; encoding: [0x66,0x02,0x0a,0x95]

s_bfe_i64 s[10:11], s[2:3], -1
// CHECK: s_bfe_i64 s[10:11], s[2:3], -1          ; encoding: [0x02,0xc1,0x0a,0x95]

s_bfe_i64 s[10:11], s[2:3], -4.0
// CHECK: s_bfe_i64 s[10:11], s[2:3], -4.0        ; encoding: [0x02,0xf7,0x0a,0x95]

s_bfe_i64 s[10:11], s[2:3], 0
// CHECK: s_bfe_i64 s[10:11], s[2:3], 0           ; encoding: [0x02,0x80,0x0a,0x95]

s_bfe_i64 s[10:11], s[2:3], 0.5
// CHECK: s_bfe_i64 s[10:11], s[2:3], 0.5         ; encoding: [0x02,0xf0,0x0a,0x95]

s_bfe_i64 s[10:11], s[2:3], 0x3f717273
// CHECK: s_bfe_i64 s[10:11], s[2:3], 0x3f717273  ; encoding: [0x02,0xff,0x0a,0x95,0x73,0x72,0x71,0x3f]

s_bfe_i64 s[10:11], s[2:3], 0xaf123456
// CHECK: s_bfe_i64 s[10:11], s[2:3], 0xaf123456  ; encoding: [0x02,0xff,0x0a,0x95,0x56,0x34,0x12,0xaf]

s_bfe_i64 s[10:11], s[2:3], exec_hi
// CHECK: s_bfe_i64 s[10:11], s[2:3], exec_hi     ; encoding: [0x02,0x7f,0x0a,0x95]

s_bfe_i64 s[10:11], s[2:3], exec_lo
// CHECK: s_bfe_i64 s[10:11], s[2:3], exec_lo     ; encoding: [0x02,0x7e,0x0a,0x95]

s_bfe_i64 s[10:11], s[2:3], flat_scratch_hi
// CHECK: s_bfe_i64 s[10:11], s[2:3], flat_scratch_hi ; encoding: [0x02,0x69,0x0a,0x95]

s_bfe_i64 s[10:11], s[2:3], flat_scratch_lo
// CHECK: s_bfe_i64 s[10:11], s[2:3], flat_scratch_lo ; encoding: [0x02,0x68,0x0a,0x95]

s_bfe_i64 s[10:11], s[2:3], m0
// CHECK: s_bfe_i64 s[10:11], s[2:3], m0          ; encoding: [0x02,0x7c,0x0a,0x95]

s_bfe_i64 s[10:11], s[2:3], s103
// CHECK: s_bfe_i64 s[10:11], s[2:3], s103        ; encoding: [0x02,0x67,0x0a,0x95]

s_bfe_i64 s[10:11], s[2:3], s2
// CHECK: s_bfe_i64 s[10:11], s[2:3], s2          ; encoding: [0x02,0x02,0x0a,0x95]

s_bfe_i64 s[10:11], s[2:3], src_execz
// CHECK: s_bfe_i64 s[10:11], s[2:3], src_execz   ; encoding: [0x02,0xfc,0x0a,0x95]

s_bfe_i64 s[10:11], s[2:3], src_scc
// CHECK: s_bfe_i64 s[10:11], s[2:3], src_scc     ; encoding: [0x02,0xfd,0x0a,0x95]

s_bfe_i64 s[10:11], s[2:3], src_vccz
// CHECK: s_bfe_i64 s[10:11], s[2:3], src_vccz    ; encoding: [0x02,0xfb,0x0a,0x95]

s_bfe_i64 s[10:11], s[2:3], tba_hi
// CHECK: s_bfe_i64 s[10:11], s[2:3], tba_hi      ; encoding: [0x02,0x6d,0x0a,0x95]

s_bfe_i64 s[10:11], s[2:3], tba_lo
// CHECK: s_bfe_i64 s[10:11], s[2:3], tba_lo      ; encoding: [0x02,0x6c,0x0a,0x95]

s_bfe_i64 s[10:11], s[2:3], tma_hi
// CHECK: s_bfe_i64 s[10:11], s[2:3], tma_hi      ; encoding: [0x02,0x6f,0x0a,0x95]

s_bfe_i64 s[10:11], s[2:3], tma_lo
// CHECK: s_bfe_i64 s[10:11], s[2:3], tma_lo      ; encoding: [0x02,0x6e,0x0a,0x95]

s_bfe_i64 s[10:11], s[2:3], ttmp11
// CHECK: s_bfe_i64 s[10:11], s[2:3], ttmp11      ; encoding: [0x02,0x7b,0x0a,0x95]

s_bfe_i64 s[10:11], s[2:3], vcc_hi
// CHECK: s_bfe_i64 s[10:11], s[2:3], vcc_hi      ; encoding: [0x02,0x6b,0x0a,0x95]

s_bfe_i64 s[10:11], s[2:3], vcc_lo
// CHECK: s_bfe_i64 s[10:11], s[2:3], vcc_lo      ; encoding: [0x02,0x6a,0x0a,0x95]

s_bfe_i64 s[10:11], s[4:5], s2
// CHECK: s_bfe_i64 s[10:11], s[4:5], s2          ; encoding: [0x04,0x02,0x0a,0x95]

s_bfe_i64 s[10:11], src_execz, s2
// CHECK: s_bfe_i64 s[10:11], src_execz, s2       ; encoding: [0xfc,0x02,0x0a,0x95]

s_bfe_i64 s[10:11], src_scc, s2
// CHECK: s_bfe_i64 s[10:11], src_scc, s2         ; encoding: [0xfd,0x02,0x0a,0x95]

s_bfe_i64 s[10:11], src_vccz, s2
// CHECK: s_bfe_i64 s[10:11], src_vccz, s2        ; encoding: [0xfb,0x02,0x0a,0x95]

s_bfe_i64 s[10:11], tba, s2
// CHECK: s_bfe_i64 s[10:11], tba, s2             ; encoding: [0x6c,0x02,0x0a,0x95]

s_bfe_i64 s[10:11], tma, s2
// CHECK: s_bfe_i64 s[10:11], tma, s2             ; encoding: [0x6e,0x02,0x0a,0x95]

s_bfe_i64 s[10:11], ttmp[10:11], s2
// CHECK: s_bfe_i64 s[10:11], ttmp[10:11], s2     ; encoding: [0x7a,0x02,0x0a,0x95]

s_bfe_i64 s[10:11], vcc, s2
// CHECK: s_bfe_i64 s[10:11], vcc, s2             ; encoding: [0x6a,0x02,0x0a,0x95]

s_bfe_i64 s[12:13], s[2:3], s2
// CHECK: s_bfe_i64 s[12:13], s[2:3], s2          ; encoding: [0x02,0x02,0x0c,0x95]

s_bfe_i64 tba, s[2:3], s2
// CHECK: s_bfe_i64 tba, s[2:3], s2               ; encoding: [0x02,0x02,0x6c,0x95]

s_bfe_i64 tma, s[2:3], s2
// CHECK: s_bfe_i64 tma, s[2:3], s2               ; encoding: [0x02,0x02,0x6e,0x95]

s_bfe_i64 ttmp[10:11], s[2:3], s2
// CHECK: s_bfe_i64 ttmp[10:11], s[2:3], s2       ; encoding: [0x02,0x02,0x7a,0x95]

s_bfe_i64 vcc, s[2:3], s2
// CHECK: s_bfe_i64 vcc, s[2:3], s2               ; encoding: [0x02,0x02,0x6a,0x95]

s_bfe_u32 exec_hi, s1, s2
// CHECK: s_bfe_u32 exec_hi, s1, s2               ; encoding: [0x01,0x02,0xff,0x93]

s_bfe_u32 exec_lo, s1, s2
// CHECK: s_bfe_u32 exec_lo, s1, s2               ; encoding: [0x01,0x02,0xfe,0x93]

s_bfe_u32 flat_scratch_hi, s1, s2
// CHECK: s_bfe_u32 flat_scratch_hi, s1, s2       ; encoding: [0x01,0x02,0xe9,0x93]

s_bfe_u32 flat_scratch_lo, s1, s2
// CHECK: s_bfe_u32 flat_scratch_lo, s1, s2       ; encoding: [0x01,0x02,0xe8,0x93]

s_bfe_u32 m0, s1, s2
// CHECK: s_bfe_u32 m0, s1, s2                    ; encoding: [0x01,0x02,0xfc,0x93]

s_bfe_u32 s103, s1, s2
// CHECK: s_bfe_u32 s103, s1, s2                  ; encoding: [0x01,0x02,0xe7,0x93]

s_bfe_u32 s5, -1, s2
// CHECK: s_bfe_u32 s5, -1, s2                    ; encoding: [0xc1,0x02,0x85,0x93]

s_bfe_u32 s5, -4.0, s2
// CHECK: s_bfe_u32 s5, -4.0, s2                  ; encoding: [0xf7,0x02,0x85,0x93]

s_bfe_u32 s5, 0, s2
// CHECK: s_bfe_u32 s5, 0, s2                     ; encoding: [0x80,0x02,0x85,0x93]

s_bfe_u32 s5, 0.5, s2
// CHECK: s_bfe_u32 s5, 0.5, s2                   ; encoding: [0xf0,0x02,0x85,0x93]

s_bfe_u32 s5, 0x3f717273, s2
// CHECK: s_bfe_u32 s5, 0x3f717273, s2            ; encoding: [0xff,0x02,0x85,0x93,0x73,0x72,0x71,0x3f]

s_bfe_u32 s5, 0xaf123456, s2
// CHECK: s_bfe_u32 s5, 0xaf123456, s2            ; encoding: [0xff,0x02,0x85,0x93,0x56,0x34,0x12,0xaf]

s_bfe_u32 s5, exec_hi, s2
// CHECK: s_bfe_u32 s5, exec_hi, s2               ; encoding: [0x7f,0x02,0x85,0x93]

s_bfe_u32 s5, exec_lo, s2
// CHECK: s_bfe_u32 s5, exec_lo, s2               ; encoding: [0x7e,0x02,0x85,0x93]

s_bfe_u32 s5, flat_scratch_hi, s2
// CHECK: s_bfe_u32 s5, flat_scratch_hi, s2       ; encoding: [0x69,0x02,0x85,0x93]

s_bfe_u32 s5, flat_scratch_lo, s2
// CHECK: s_bfe_u32 s5, flat_scratch_lo, s2       ; encoding: [0x68,0x02,0x85,0x93]

s_bfe_u32 s5, m0, s2
// CHECK: s_bfe_u32 s5, m0, s2                    ; encoding: [0x7c,0x02,0x85,0x93]

s_bfe_u32 s5, s1, -1
// CHECK: s_bfe_u32 s5, s1, -1                    ; encoding: [0x01,0xc1,0x85,0x93]

s_bfe_u32 s5, s1, -4.0
// CHECK: s_bfe_u32 s5, s1, -4.0                  ; encoding: [0x01,0xf7,0x85,0x93]

s_bfe_u32 s5, s1, 0
// CHECK: s_bfe_u32 s5, s1, 0                     ; encoding: [0x01,0x80,0x85,0x93]

s_bfe_u32 s5, s1, 0.5
// CHECK: s_bfe_u32 s5, s1, 0.5                   ; encoding: [0x01,0xf0,0x85,0x93]

s_bfe_u32 s5, s1, 0x3f717273
// CHECK: s_bfe_u32 s5, s1, 0x3f717273            ; encoding: [0x01,0xff,0x85,0x93,0x73,0x72,0x71,0x3f]

s_bfe_u32 s5, s1, 0xaf123456
// CHECK: s_bfe_u32 s5, s1, 0xaf123456            ; encoding: [0x01,0xff,0x85,0x93,0x56,0x34,0x12,0xaf]

s_bfe_u32 s5, s1, exec_hi
// CHECK: s_bfe_u32 s5, s1, exec_hi               ; encoding: [0x01,0x7f,0x85,0x93]

s_bfe_u32 s5, s1, exec_lo
// CHECK: s_bfe_u32 s5, s1, exec_lo               ; encoding: [0x01,0x7e,0x85,0x93]

s_bfe_u32 s5, s1, flat_scratch_hi
// CHECK: s_bfe_u32 s5, s1, flat_scratch_hi       ; encoding: [0x01,0x69,0x85,0x93]

s_bfe_u32 s5, s1, flat_scratch_lo
// CHECK: s_bfe_u32 s5, s1, flat_scratch_lo       ; encoding: [0x01,0x68,0x85,0x93]

s_bfe_u32 s5, s1, m0
// CHECK: s_bfe_u32 s5, s1, m0                    ; encoding: [0x01,0x7c,0x85,0x93]

s_bfe_u32 s5, s1, s103
// CHECK: s_bfe_u32 s5, s1, s103                  ; encoding: [0x01,0x67,0x85,0x93]

s_bfe_u32 s5, s1, s2
// CHECK: s_bfe_u32 s5, s1, s2                    ; encoding: [0x01,0x02,0x85,0x93]

s_bfe_u32 s5, s1, src_execz
// CHECK: s_bfe_u32 s5, s1, src_execz             ; encoding: [0x01,0xfc,0x85,0x93]

s_bfe_u32 s5, s1, src_scc
// CHECK: s_bfe_u32 s5, s1, src_scc               ; encoding: [0x01,0xfd,0x85,0x93]

s_bfe_u32 s5, s1, src_vccz
// CHECK: s_bfe_u32 s5, s1, src_vccz              ; encoding: [0x01,0xfb,0x85,0x93]

s_bfe_u32 s5, s1, tba_hi
// CHECK: s_bfe_u32 s5, s1, tba_hi                ; encoding: [0x01,0x6d,0x85,0x93]

s_bfe_u32 s5, s1, tba_lo
// CHECK: s_bfe_u32 s5, s1, tba_lo                ; encoding: [0x01,0x6c,0x85,0x93]

s_bfe_u32 s5, s1, tma_hi
// CHECK: s_bfe_u32 s5, s1, tma_hi                ; encoding: [0x01,0x6f,0x85,0x93]

s_bfe_u32 s5, s1, tma_lo
// CHECK: s_bfe_u32 s5, s1, tma_lo                ; encoding: [0x01,0x6e,0x85,0x93]

s_bfe_u32 s5, s1, ttmp11
// CHECK: s_bfe_u32 s5, s1, ttmp11                ; encoding: [0x01,0x7b,0x85,0x93]

s_bfe_u32 s5, s1, vcc_hi
// CHECK: s_bfe_u32 s5, s1, vcc_hi                ; encoding: [0x01,0x6b,0x85,0x93]

s_bfe_u32 s5, s1, vcc_lo
// CHECK: s_bfe_u32 s5, s1, vcc_lo                ; encoding: [0x01,0x6a,0x85,0x93]

s_bfe_u32 s5, s103, s2
// CHECK: s_bfe_u32 s5, s103, s2                  ; encoding: [0x67,0x02,0x85,0x93]

s_bfe_u32 s5, src_execz, s2
// CHECK: s_bfe_u32 s5, src_execz, s2             ; encoding: [0xfc,0x02,0x85,0x93]

s_bfe_u32 s5, src_scc, s2
// CHECK: s_bfe_u32 s5, src_scc, s2               ; encoding: [0xfd,0x02,0x85,0x93]

s_bfe_u32 s5, src_vccz, s2
// CHECK: s_bfe_u32 s5, src_vccz, s2              ; encoding: [0xfb,0x02,0x85,0x93]

s_bfe_u32 s5, tba_hi, s2
// CHECK: s_bfe_u32 s5, tba_hi, s2                ; encoding: [0x6d,0x02,0x85,0x93]

s_bfe_u32 s5, tba_lo, s2
// CHECK: s_bfe_u32 s5, tba_lo, s2                ; encoding: [0x6c,0x02,0x85,0x93]

s_bfe_u32 s5, tma_hi, s2
// CHECK: s_bfe_u32 s5, tma_hi, s2                ; encoding: [0x6f,0x02,0x85,0x93]

s_bfe_u32 s5, tma_lo, s2
// CHECK: s_bfe_u32 s5, tma_lo, s2                ; encoding: [0x6e,0x02,0x85,0x93]

s_bfe_u32 s5, ttmp11, s2
// CHECK: s_bfe_u32 s5, ttmp11, s2                ; encoding: [0x7b,0x02,0x85,0x93]

s_bfe_u32 s5, vcc_hi, s2
// CHECK: s_bfe_u32 s5, vcc_hi, s2                ; encoding: [0x6b,0x02,0x85,0x93]

s_bfe_u32 s5, vcc_lo, s2
// CHECK: s_bfe_u32 s5, vcc_lo, s2                ; encoding: [0x6a,0x02,0x85,0x93]

s_bfe_u32 tba_hi, s1, s2
// CHECK: s_bfe_u32 tba_hi, s1, s2                ; encoding: [0x01,0x02,0xed,0x93]

s_bfe_u32 tba_lo, s1, s2
// CHECK: s_bfe_u32 tba_lo, s1, s2                ; encoding: [0x01,0x02,0xec,0x93]

s_bfe_u32 tma_hi, s1, s2
// CHECK: s_bfe_u32 tma_hi, s1, s2                ; encoding: [0x01,0x02,0xef,0x93]

s_bfe_u32 tma_lo, s1, s2
// CHECK: s_bfe_u32 tma_lo, s1, s2                ; encoding: [0x01,0x02,0xee,0x93]

s_bfe_u32 ttmp11, s1, s2
// CHECK: s_bfe_u32 ttmp11, s1, s2                ; encoding: [0x01,0x02,0xfb,0x93]

s_bfe_u32 vcc_hi, s1, s2
// CHECK: s_bfe_u32 vcc_hi, s1, s2                ; encoding: [0x01,0x02,0xeb,0x93]

s_bfe_u32 vcc_lo, s1, s2
// CHECK: s_bfe_u32 vcc_lo, s1, s2                ; encoding: [0x01,0x02,0xea,0x93]

s_bfe_u64 exec, s[2:3], s2
// CHECK: s_bfe_u64 exec, s[2:3], s2              ; encoding: [0x02,0x02,0xfe,0x94]

s_bfe_u64 flat_scratch, s[2:3], s2
// CHECK: s_bfe_u64 flat_scratch, s[2:3], s2      ; encoding: [0x02,0x02,0xe8,0x94]

s_bfe_u64 s[102:103], s[2:3], s2
// CHECK: s_bfe_u64 s[102:103], s[2:3], s2        ; encoding: [0x02,0x02,0xe6,0x94]

s_bfe_u64 s[10:11], -1, s2
// CHECK: s_bfe_u64 s[10:11], -1, s2              ; encoding: [0xc1,0x02,0x8a,0x94]

s_bfe_u64 s[10:11], -4.0, s2
// CHECK: s_bfe_u64 s[10:11], -4.0, s2            ; encoding: [0xf7,0x02,0x8a,0x94]

s_bfe_u64 s[10:11], 0, s2
// CHECK: s_bfe_u64 s[10:11], 0, s2               ; encoding: [0x80,0x02,0x8a,0x94]

s_bfe_u64 s[10:11], 0.5, s2
// CHECK: s_bfe_u64 s[10:11], 0.5, s2             ; encoding: [0xf0,0x02,0x8a,0x94]

s_bfe_u64 s[10:11], 0x3f717273, s2
// CHECK: s_bfe_u64 s[10:11], 0x3f717273, s2      ; encoding: [0xff,0x02,0x8a,0x94,0x73,0x72,0x71,0x3f]

s_bfe_u64 s[10:11], 0xaf123456, s2
// CHECK: s_bfe_u64 s[10:11], 0xaf123456, s2      ; encoding: [0xff,0x02,0x8a,0x94,0x56,0x34,0x12,0xaf]

s_bfe_u64 s[10:11], exec, s2
// CHECK: s_bfe_u64 s[10:11], exec, s2            ; encoding: [0x7e,0x02,0x8a,0x94]

s_bfe_u64 s[10:11], flat_scratch, s2
// CHECK: s_bfe_u64 s[10:11], flat_scratch, s2    ; encoding: [0x68,0x02,0x8a,0x94]

s_bfe_u64 s[10:11], s[102:103], s2
// CHECK: s_bfe_u64 s[10:11], s[102:103], s2      ; encoding: [0x66,0x02,0x8a,0x94]

s_bfe_u64 s[10:11], s[2:3], -1
// CHECK: s_bfe_u64 s[10:11], s[2:3], -1          ; encoding: [0x02,0xc1,0x8a,0x94]

s_bfe_u64 s[10:11], s[2:3], -4.0
// CHECK: s_bfe_u64 s[10:11], s[2:3], -4.0        ; encoding: [0x02,0xf7,0x8a,0x94]

s_bfe_u64 s[10:11], s[2:3], 0
// CHECK: s_bfe_u64 s[10:11], s[2:3], 0           ; encoding: [0x02,0x80,0x8a,0x94]

s_bfe_u64 s[10:11], s[2:3], 0.5
// CHECK: s_bfe_u64 s[10:11], s[2:3], 0.5         ; encoding: [0x02,0xf0,0x8a,0x94]

s_bfe_u64 s[10:11], s[2:3], 0x3f717273
// CHECK: s_bfe_u64 s[10:11], s[2:3], 0x3f717273  ; encoding: [0x02,0xff,0x8a,0x94,0x73,0x72,0x71,0x3f]

s_bfe_u64 s[10:11], s[2:3], 0xaf123456
// CHECK: s_bfe_u64 s[10:11], s[2:3], 0xaf123456  ; encoding: [0x02,0xff,0x8a,0x94,0x56,0x34,0x12,0xaf]

s_bfe_u64 s[10:11], s[2:3], exec_hi
// CHECK: s_bfe_u64 s[10:11], s[2:3], exec_hi     ; encoding: [0x02,0x7f,0x8a,0x94]

s_bfe_u64 s[10:11], s[2:3], exec_lo
// CHECK: s_bfe_u64 s[10:11], s[2:3], exec_lo     ; encoding: [0x02,0x7e,0x8a,0x94]

s_bfe_u64 s[10:11], s[2:3], flat_scratch_hi
// CHECK: s_bfe_u64 s[10:11], s[2:3], flat_scratch_hi ; encoding: [0x02,0x69,0x8a,0x94]

s_bfe_u64 s[10:11], s[2:3], flat_scratch_lo
// CHECK: s_bfe_u64 s[10:11], s[2:3], flat_scratch_lo ; encoding: [0x02,0x68,0x8a,0x94]

s_bfe_u64 s[10:11], s[2:3], m0
// CHECK: s_bfe_u64 s[10:11], s[2:3], m0          ; encoding: [0x02,0x7c,0x8a,0x94]

s_bfe_u64 s[10:11], s[2:3], s103
// CHECK: s_bfe_u64 s[10:11], s[2:3], s103        ; encoding: [0x02,0x67,0x8a,0x94]

s_bfe_u64 s[10:11], s[2:3], s2
// CHECK: s_bfe_u64 s[10:11], s[2:3], s2          ; encoding: [0x02,0x02,0x8a,0x94]

s_bfe_u64 s[10:11], s[2:3], src_execz
// CHECK: s_bfe_u64 s[10:11], s[2:3], src_execz   ; encoding: [0x02,0xfc,0x8a,0x94]

s_bfe_u64 s[10:11], s[2:3], src_scc
// CHECK: s_bfe_u64 s[10:11], s[2:3], src_scc     ; encoding: [0x02,0xfd,0x8a,0x94]

s_bfe_u64 s[10:11], s[2:3], src_vccz
// CHECK: s_bfe_u64 s[10:11], s[2:3], src_vccz    ; encoding: [0x02,0xfb,0x8a,0x94]

s_bfe_u64 s[10:11], s[2:3], tba_hi
// CHECK: s_bfe_u64 s[10:11], s[2:3], tba_hi      ; encoding: [0x02,0x6d,0x8a,0x94]

s_bfe_u64 s[10:11], s[2:3], tba_lo
// CHECK: s_bfe_u64 s[10:11], s[2:3], tba_lo      ; encoding: [0x02,0x6c,0x8a,0x94]

s_bfe_u64 s[10:11], s[2:3], tma_hi
// CHECK: s_bfe_u64 s[10:11], s[2:3], tma_hi      ; encoding: [0x02,0x6f,0x8a,0x94]

s_bfe_u64 s[10:11], s[2:3], tma_lo
// CHECK: s_bfe_u64 s[10:11], s[2:3], tma_lo      ; encoding: [0x02,0x6e,0x8a,0x94]

s_bfe_u64 s[10:11], s[2:3], ttmp11
// CHECK: s_bfe_u64 s[10:11], s[2:3], ttmp11      ; encoding: [0x02,0x7b,0x8a,0x94]

s_bfe_u64 s[10:11], s[2:3], vcc_hi
// CHECK: s_bfe_u64 s[10:11], s[2:3], vcc_hi      ; encoding: [0x02,0x6b,0x8a,0x94]

s_bfe_u64 s[10:11], s[2:3], vcc_lo
// CHECK: s_bfe_u64 s[10:11], s[2:3], vcc_lo      ; encoding: [0x02,0x6a,0x8a,0x94]

s_bfe_u64 s[10:11], s[4:5], s2
// CHECK: s_bfe_u64 s[10:11], s[4:5], s2          ; encoding: [0x04,0x02,0x8a,0x94]

s_bfe_u64 s[10:11], src_execz, s2
// CHECK: s_bfe_u64 s[10:11], src_execz, s2       ; encoding: [0xfc,0x02,0x8a,0x94]

s_bfe_u64 s[10:11], src_scc, s2
// CHECK: s_bfe_u64 s[10:11], src_scc, s2         ; encoding: [0xfd,0x02,0x8a,0x94]

s_bfe_u64 s[10:11], src_vccz, s2
// CHECK: s_bfe_u64 s[10:11], src_vccz, s2        ; encoding: [0xfb,0x02,0x8a,0x94]

s_bfe_u64 s[10:11], tba, s2
// CHECK: s_bfe_u64 s[10:11], tba, s2             ; encoding: [0x6c,0x02,0x8a,0x94]

s_bfe_u64 s[10:11], tma, s2
// CHECK: s_bfe_u64 s[10:11], tma, s2             ; encoding: [0x6e,0x02,0x8a,0x94]

s_bfe_u64 s[10:11], ttmp[10:11], s2
// CHECK: s_bfe_u64 s[10:11], ttmp[10:11], s2     ; encoding: [0x7a,0x02,0x8a,0x94]

s_bfe_u64 s[10:11], vcc, s2
// CHECK: s_bfe_u64 s[10:11], vcc, s2             ; encoding: [0x6a,0x02,0x8a,0x94]

s_bfe_u64 s[12:13], s[2:3], s2
// CHECK: s_bfe_u64 s[12:13], s[2:3], s2          ; encoding: [0x02,0x02,0x8c,0x94]

s_bfe_u64 tba, s[2:3], s2
// CHECK: s_bfe_u64 tba, s[2:3], s2               ; encoding: [0x02,0x02,0xec,0x94]

s_bfe_u64 tma, s[2:3], s2
// CHECK: s_bfe_u64 tma, s[2:3], s2               ; encoding: [0x02,0x02,0xee,0x94]

s_bfe_u64 ttmp[10:11], s[2:3], s2
// CHECK: s_bfe_u64 ttmp[10:11], s[2:3], s2       ; encoding: [0x02,0x02,0xfa,0x94]

s_bfe_u64 vcc, s[2:3], s2
// CHECK: s_bfe_u64 vcc, s[2:3], s2               ; encoding: [0x02,0x02,0xea,0x94]

s_bfm_b32 exec_hi, s1, s2
// CHECK: s_bfm_b32 exec_hi, s1, s2               ; encoding: [0x01,0x02,0x7f,0x92]

s_bfm_b32 exec_lo, s1, s2
// CHECK: s_bfm_b32 exec_lo, s1, s2               ; encoding: [0x01,0x02,0x7e,0x92]

s_bfm_b32 flat_scratch_hi, s1, s2
// CHECK: s_bfm_b32 flat_scratch_hi, s1, s2       ; encoding: [0x01,0x02,0x69,0x92]

s_bfm_b32 flat_scratch_lo, s1, s2
// CHECK: s_bfm_b32 flat_scratch_lo, s1, s2       ; encoding: [0x01,0x02,0x68,0x92]

s_bfm_b32 m0, s1, s2
// CHECK: s_bfm_b32 m0, s1, s2                    ; encoding: [0x01,0x02,0x7c,0x92]

s_bfm_b32 s103, s1, s2
// CHECK: s_bfm_b32 s103, s1, s2                  ; encoding: [0x01,0x02,0x67,0x92]

s_bfm_b32 s5, -1, s2
// CHECK: s_bfm_b32 s5, -1, s2                    ; encoding: [0xc1,0x02,0x05,0x92]

s_bfm_b32 s5, -4.0, s2
// CHECK: s_bfm_b32 s5, -4.0, s2                  ; encoding: [0xf7,0x02,0x05,0x92]

s_bfm_b32 s5, 0, s2
// CHECK: s_bfm_b32 s5, 0, s2                     ; encoding: [0x80,0x02,0x05,0x92]

s_bfm_b32 s5, 0.5, s2
// CHECK: s_bfm_b32 s5, 0.5, s2                   ; encoding: [0xf0,0x02,0x05,0x92]

s_bfm_b32 s5, 0x3f717273, s2
// CHECK: s_bfm_b32 s5, 0x3f717273, s2            ; encoding: [0xff,0x02,0x05,0x92,0x73,0x72,0x71,0x3f]

s_bfm_b32 s5, 0xaf123456, s2
// CHECK: s_bfm_b32 s5, 0xaf123456, s2            ; encoding: [0xff,0x02,0x05,0x92,0x56,0x34,0x12,0xaf]

s_bfm_b32 s5, exec_hi, s2
// CHECK: s_bfm_b32 s5, exec_hi, s2               ; encoding: [0x7f,0x02,0x05,0x92]

s_bfm_b32 s5, exec_lo, s2
// CHECK: s_bfm_b32 s5, exec_lo, s2               ; encoding: [0x7e,0x02,0x05,0x92]

s_bfm_b32 s5, flat_scratch_hi, s2
// CHECK: s_bfm_b32 s5, flat_scratch_hi, s2       ; encoding: [0x69,0x02,0x05,0x92]

s_bfm_b32 s5, flat_scratch_lo, s2
// CHECK: s_bfm_b32 s5, flat_scratch_lo, s2       ; encoding: [0x68,0x02,0x05,0x92]

s_bfm_b32 s5, m0, s2
// CHECK: s_bfm_b32 s5, m0, s2                    ; encoding: [0x7c,0x02,0x05,0x92]

s_bfm_b32 s5, s1, -1
// CHECK: s_bfm_b32 s5, s1, -1                    ; encoding: [0x01,0xc1,0x05,0x92]

s_bfm_b32 s5, s1, -4.0
// CHECK: s_bfm_b32 s5, s1, -4.0                  ; encoding: [0x01,0xf7,0x05,0x92]

s_bfm_b32 s5, s1, 0
// CHECK: s_bfm_b32 s5, s1, 0                     ; encoding: [0x01,0x80,0x05,0x92]

s_bfm_b32 s5, s1, 0.5
// CHECK: s_bfm_b32 s5, s1, 0.5                   ; encoding: [0x01,0xf0,0x05,0x92]

s_bfm_b32 s5, s1, 0x3f717273
// CHECK: s_bfm_b32 s5, s1, 0x3f717273            ; encoding: [0x01,0xff,0x05,0x92,0x73,0x72,0x71,0x3f]

s_bfm_b32 s5, s1, 0xaf123456
// CHECK: s_bfm_b32 s5, s1, 0xaf123456            ; encoding: [0x01,0xff,0x05,0x92,0x56,0x34,0x12,0xaf]

s_bfm_b32 s5, s1, exec_hi
// CHECK: s_bfm_b32 s5, s1, exec_hi               ; encoding: [0x01,0x7f,0x05,0x92]

s_bfm_b32 s5, s1, exec_lo
// CHECK: s_bfm_b32 s5, s1, exec_lo               ; encoding: [0x01,0x7e,0x05,0x92]

s_bfm_b32 s5, s1, flat_scratch_hi
// CHECK: s_bfm_b32 s5, s1, flat_scratch_hi       ; encoding: [0x01,0x69,0x05,0x92]

s_bfm_b32 s5, s1, flat_scratch_lo
// CHECK: s_bfm_b32 s5, s1, flat_scratch_lo       ; encoding: [0x01,0x68,0x05,0x92]

s_bfm_b32 s5, s1, m0
// CHECK: s_bfm_b32 s5, s1, m0                    ; encoding: [0x01,0x7c,0x05,0x92]

s_bfm_b32 s5, s1, s103
// CHECK: s_bfm_b32 s5, s1, s103                  ; encoding: [0x01,0x67,0x05,0x92]

s_bfm_b32 s5, s1, s2
// CHECK: s_bfm_b32 s5, s1, s2                    ; encoding: [0x01,0x02,0x05,0x92]

s_bfm_b32 s5, s1, src_execz
// CHECK: s_bfm_b32 s5, s1, src_execz             ; encoding: [0x01,0xfc,0x05,0x92]

s_bfm_b32 s5, s1, src_scc
// CHECK: s_bfm_b32 s5, s1, src_scc               ; encoding: [0x01,0xfd,0x05,0x92]

s_bfm_b32 s5, s1, src_vccz
// CHECK: s_bfm_b32 s5, s1, src_vccz              ; encoding: [0x01,0xfb,0x05,0x92]

s_bfm_b32 s5, s1, tba_hi
// CHECK: s_bfm_b32 s5, s1, tba_hi                ; encoding: [0x01,0x6d,0x05,0x92]

s_bfm_b32 s5, s1, tba_lo
// CHECK: s_bfm_b32 s5, s1, tba_lo                ; encoding: [0x01,0x6c,0x05,0x92]

s_bfm_b32 s5, s1, tma_hi
// CHECK: s_bfm_b32 s5, s1, tma_hi                ; encoding: [0x01,0x6f,0x05,0x92]

s_bfm_b32 s5, s1, tma_lo
// CHECK: s_bfm_b32 s5, s1, tma_lo                ; encoding: [0x01,0x6e,0x05,0x92]

s_bfm_b32 s5, s1, ttmp11
// CHECK: s_bfm_b32 s5, s1, ttmp11                ; encoding: [0x01,0x7b,0x05,0x92]

s_bfm_b32 s5, s1, vcc_hi
// CHECK: s_bfm_b32 s5, s1, vcc_hi                ; encoding: [0x01,0x6b,0x05,0x92]

s_bfm_b32 s5, s1, vcc_lo
// CHECK: s_bfm_b32 s5, s1, vcc_lo                ; encoding: [0x01,0x6a,0x05,0x92]

s_bfm_b32 s5, s103, s2
// CHECK: s_bfm_b32 s5, s103, s2                  ; encoding: [0x67,0x02,0x05,0x92]

s_bfm_b32 s5, src_execz, s2
// CHECK: s_bfm_b32 s5, src_execz, s2             ; encoding: [0xfc,0x02,0x05,0x92]

s_bfm_b32 s5, src_scc, s2
// CHECK: s_bfm_b32 s5, src_scc, s2               ; encoding: [0xfd,0x02,0x05,0x92]

s_bfm_b32 s5, src_vccz, s2
// CHECK: s_bfm_b32 s5, src_vccz, s2              ; encoding: [0xfb,0x02,0x05,0x92]

s_bfm_b32 s5, tba_hi, s2
// CHECK: s_bfm_b32 s5, tba_hi, s2                ; encoding: [0x6d,0x02,0x05,0x92]

s_bfm_b32 s5, tba_lo, s2
// CHECK: s_bfm_b32 s5, tba_lo, s2                ; encoding: [0x6c,0x02,0x05,0x92]

s_bfm_b32 s5, tma_hi, s2
// CHECK: s_bfm_b32 s5, tma_hi, s2                ; encoding: [0x6f,0x02,0x05,0x92]

s_bfm_b32 s5, tma_lo, s2
// CHECK: s_bfm_b32 s5, tma_lo, s2                ; encoding: [0x6e,0x02,0x05,0x92]

s_bfm_b32 s5, ttmp11, s2
// CHECK: s_bfm_b32 s5, ttmp11, s2                ; encoding: [0x7b,0x02,0x05,0x92]

s_bfm_b32 s5, vcc_hi, s2
// CHECK: s_bfm_b32 s5, vcc_hi, s2                ; encoding: [0x6b,0x02,0x05,0x92]

s_bfm_b32 s5, vcc_lo, s2
// CHECK: s_bfm_b32 s5, vcc_lo, s2                ; encoding: [0x6a,0x02,0x05,0x92]

s_bfm_b32 tba_hi, s1, s2
// CHECK: s_bfm_b32 tba_hi, s1, s2                ; encoding: [0x01,0x02,0x6d,0x92]

s_bfm_b32 tba_lo, s1, s2
// CHECK: s_bfm_b32 tba_lo, s1, s2                ; encoding: [0x01,0x02,0x6c,0x92]

s_bfm_b32 tma_hi, s1, s2
// CHECK: s_bfm_b32 tma_hi, s1, s2                ; encoding: [0x01,0x02,0x6f,0x92]

s_bfm_b32 tma_lo, s1, s2
// CHECK: s_bfm_b32 tma_lo, s1, s2                ; encoding: [0x01,0x02,0x6e,0x92]

s_bfm_b32 ttmp11, s1, s2
// CHECK: s_bfm_b32 ttmp11, s1, s2                ; encoding: [0x01,0x02,0x7b,0x92]

s_bfm_b32 vcc_hi, s1, s2
// CHECK: s_bfm_b32 vcc_hi, s1, s2                ; encoding: [0x01,0x02,0x6b,0x92]

s_bfm_b32 vcc_lo, s1, s2
// CHECK: s_bfm_b32 vcc_lo, s1, s2                ; encoding: [0x01,0x02,0x6a,0x92]

s_bfm_b64 exec, s1, s2
// CHECK: s_bfm_b64 exec, s1, s2                  ; encoding: [0x01,0x02,0xfe,0x92]

s_bfm_b64 flat_scratch, s1, s2
// CHECK: s_bfm_b64 flat_scratch, s1, s2          ; encoding: [0x01,0x02,0xe8,0x92]

s_bfm_b64 s[102:103], s1, s2
// CHECK: s_bfm_b64 s[102:103], s1, s2            ; encoding: [0x01,0x02,0xe6,0x92]

s_bfm_b64 s[10:11], -1, s2
// CHECK: s_bfm_b64 s[10:11], -1, s2              ; encoding: [0xc1,0x02,0x8a,0x92]

s_bfm_b64 s[10:11], -4.0, s2
// CHECK: s_bfm_b64 s[10:11], -4.0, s2            ; encoding: [0xf7,0x02,0x8a,0x92]

s_bfm_b64 s[10:11], 0, s2
// CHECK: s_bfm_b64 s[10:11], 0, s2               ; encoding: [0x80,0x02,0x8a,0x92]

s_bfm_b64 s[10:11], 0.5, s2
// CHECK: s_bfm_b64 s[10:11], 0.5, s2             ; encoding: [0xf0,0x02,0x8a,0x92]

s_bfm_b64 s[10:11], 0x3f717273, s2
// CHECK: s_bfm_b64 s[10:11], 0x3f717273, s2      ; encoding: [0xff,0x02,0x8a,0x92,0x73,0x72,0x71,0x3f]

s_bfm_b64 s[10:11], 0xaf123456, s2
// CHECK: s_bfm_b64 s[10:11], 0xaf123456, s2      ; encoding: [0xff,0x02,0x8a,0x92,0x56,0x34,0x12,0xaf]

s_bfm_b64 s[10:11], exec_hi, s2
// CHECK: s_bfm_b64 s[10:11], exec_hi, s2         ; encoding: [0x7f,0x02,0x8a,0x92]

s_bfm_b64 s[10:11], exec_lo, s2
// CHECK: s_bfm_b64 s[10:11], exec_lo, s2         ; encoding: [0x7e,0x02,0x8a,0x92]

s_bfm_b64 s[10:11], flat_scratch_hi, s2
// CHECK: s_bfm_b64 s[10:11], flat_scratch_hi, s2 ; encoding: [0x69,0x02,0x8a,0x92]

s_bfm_b64 s[10:11], flat_scratch_lo, s2
// CHECK: s_bfm_b64 s[10:11], flat_scratch_lo, s2 ; encoding: [0x68,0x02,0x8a,0x92]

s_bfm_b64 s[10:11], m0, s2
// CHECK: s_bfm_b64 s[10:11], m0, s2              ; encoding: [0x7c,0x02,0x8a,0x92]

s_bfm_b64 s[10:11], s1, -1
// CHECK: s_bfm_b64 s[10:11], s1, -1              ; encoding: [0x01,0xc1,0x8a,0x92]

s_bfm_b64 s[10:11], s1, -4.0
// CHECK: s_bfm_b64 s[10:11], s1, -4.0            ; encoding: [0x01,0xf7,0x8a,0x92]

s_bfm_b64 s[10:11], s1, 0
// CHECK: s_bfm_b64 s[10:11], s1, 0               ; encoding: [0x01,0x80,0x8a,0x92]

s_bfm_b64 s[10:11], s1, 0.5
// CHECK: s_bfm_b64 s[10:11], s1, 0.5             ; encoding: [0x01,0xf0,0x8a,0x92]

s_bfm_b64 s[10:11], s1, 0x3f717273
// CHECK: s_bfm_b64 s[10:11], s1, 0x3f717273      ; encoding: [0x01,0xff,0x8a,0x92,0x73,0x72,0x71,0x3f]

s_bfm_b64 s[10:11], s1, 0xaf123456
// CHECK: s_bfm_b64 s[10:11], s1, 0xaf123456      ; encoding: [0x01,0xff,0x8a,0x92,0x56,0x34,0x12,0xaf]

s_bfm_b64 s[10:11], s1, exec_hi
// CHECK: s_bfm_b64 s[10:11], s1, exec_hi         ; encoding: [0x01,0x7f,0x8a,0x92]

s_bfm_b64 s[10:11], s1, exec_lo
// CHECK: s_bfm_b64 s[10:11], s1, exec_lo         ; encoding: [0x01,0x7e,0x8a,0x92]

s_bfm_b64 s[10:11], s1, flat_scratch_hi
// CHECK: s_bfm_b64 s[10:11], s1, flat_scratch_hi ; encoding: [0x01,0x69,0x8a,0x92]

s_bfm_b64 s[10:11], s1, flat_scratch_lo
// CHECK: s_bfm_b64 s[10:11], s1, flat_scratch_lo ; encoding: [0x01,0x68,0x8a,0x92]

s_bfm_b64 s[10:11], s1, m0
// CHECK: s_bfm_b64 s[10:11], s1, m0              ; encoding: [0x01,0x7c,0x8a,0x92]

s_bfm_b64 s[10:11], s1, s103
// CHECK: s_bfm_b64 s[10:11], s1, s103            ; encoding: [0x01,0x67,0x8a,0x92]

s_bfm_b64 s[10:11], s1, s2
// CHECK: s_bfm_b64 s[10:11], s1, s2              ; encoding: [0x01,0x02,0x8a,0x92]

s_bfm_b64 s[10:11], s1, src_execz
// CHECK: s_bfm_b64 s[10:11], s1, src_execz       ; encoding: [0x01,0xfc,0x8a,0x92]

s_bfm_b64 s[10:11], s1, src_scc
// CHECK: s_bfm_b64 s[10:11], s1, src_scc         ; encoding: [0x01,0xfd,0x8a,0x92]

s_bfm_b64 s[10:11], s1, src_vccz
// CHECK: s_bfm_b64 s[10:11], s1, src_vccz        ; encoding: [0x01,0xfb,0x8a,0x92]

s_bfm_b64 s[10:11], s1, tba_hi
// CHECK: s_bfm_b64 s[10:11], s1, tba_hi          ; encoding: [0x01,0x6d,0x8a,0x92]

s_bfm_b64 s[10:11], s1, tba_lo
// CHECK: s_bfm_b64 s[10:11], s1, tba_lo          ; encoding: [0x01,0x6c,0x8a,0x92]

s_bfm_b64 s[10:11], s1, tma_hi
// CHECK: s_bfm_b64 s[10:11], s1, tma_hi          ; encoding: [0x01,0x6f,0x8a,0x92]

s_bfm_b64 s[10:11], s1, tma_lo
// CHECK: s_bfm_b64 s[10:11], s1, tma_lo          ; encoding: [0x01,0x6e,0x8a,0x92]

s_bfm_b64 s[10:11], s1, ttmp11
// CHECK: s_bfm_b64 s[10:11], s1, ttmp11          ; encoding: [0x01,0x7b,0x8a,0x92]

s_bfm_b64 s[10:11], s1, vcc_hi
// CHECK: s_bfm_b64 s[10:11], s1, vcc_hi          ; encoding: [0x01,0x6b,0x8a,0x92]

s_bfm_b64 s[10:11], s1, vcc_lo
// CHECK: s_bfm_b64 s[10:11], s1, vcc_lo          ; encoding: [0x01,0x6a,0x8a,0x92]

s_bfm_b64 s[10:11], s103, s2
// CHECK: s_bfm_b64 s[10:11], s103, s2            ; encoding: [0x67,0x02,0x8a,0x92]

s_bfm_b64 s[10:11], src_execz, s2
// CHECK: s_bfm_b64 s[10:11], src_execz, s2       ; encoding: [0xfc,0x02,0x8a,0x92]

s_bfm_b64 s[10:11], src_scc, s2
// CHECK: s_bfm_b64 s[10:11], src_scc, s2         ; encoding: [0xfd,0x02,0x8a,0x92]

s_bfm_b64 s[10:11], src_vccz, s2
// CHECK: s_bfm_b64 s[10:11], src_vccz, s2        ; encoding: [0xfb,0x02,0x8a,0x92]

s_bfm_b64 s[10:11], tba_hi, s2
// CHECK: s_bfm_b64 s[10:11], tba_hi, s2          ; encoding: [0x6d,0x02,0x8a,0x92]

s_bfm_b64 s[10:11], tba_lo, s2
// CHECK: s_bfm_b64 s[10:11], tba_lo, s2          ; encoding: [0x6c,0x02,0x8a,0x92]

s_bfm_b64 s[10:11], tma_hi, s2
// CHECK: s_bfm_b64 s[10:11], tma_hi, s2          ; encoding: [0x6f,0x02,0x8a,0x92]

s_bfm_b64 s[10:11], tma_lo, s2
// CHECK: s_bfm_b64 s[10:11], tma_lo, s2          ; encoding: [0x6e,0x02,0x8a,0x92]

s_bfm_b64 s[10:11], ttmp11, s2
// CHECK: s_bfm_b64 s[10:11], ttmp11, s2          ; encoding: [0x7b,0x02,0x8a,0x92]

s_bfm_b64 s[10:11], vcc_hi, s2
// CHECK: s_bfm_b64 s[10:11], vcc_hi, s2          ; encoding: [0x6b,0x02,0x8a,0x92]

s_bfm_b64 s[10:11], vcc_lo, s2
// CHECK: s_bfm_b64 s[10:11], vcc_lo, s2          ; encoding: [0x6a,0x02,0x8a,0x92]

s_bfm_b64 s[12:13], s1, s2
// CHECK: s_bfm_b64 s[12:13], s1, s2              ; encoding: [0x01,0x02,0x8c,0x92]

s_bfm_b64 tba, s1, s2
// CHECK: s_bfm_b64 tba, s1, s2                   ; encoding: [0x01,0x02,0xec,0x92]

s_bfm_b64 tma, s1, s2
// CHECK: s_bfm_b64 tma, s1, s2                   ; encoding: [0x01,0x02,0xee,0x92]

s_bfm_b64 ttmp[10:11], s1, s2
// CHECK: s_bfm_b64 ttmp[10:11], s1, s2           ; encoding: [0x01,0x02,0xfa,0x92]

s_bfm_b64 vcc, s1, s2
// CHECK: s_bfm_b64 vcc, s1, s2                   ; encoding: [0x01,0x02,0xea,0x92]

s_cbranch_g_fork -1, s[4:5]
// CHECK: s_cbranch_g_fork -1, s[4:5]             ; encoding: [0xc1,0x04,0x80,0x95]

s_cbranch_g_fork -4.0, s[4:5]
// CHECK: s_cbranch_g_fork -4.0, s[4:5]           ; encoding: [0xf7,0x04,0x80,0x95]

s_cbranch_g_fork 0, s[4:5]
// CHECK: s_cbranch_g_fork 0, s[4:5]              ; encoding: [0x80,0x04,0x80,0x95]

s_cbranch_g_fork 0.5, s[4:5]
// CHECK: s_cbranch_g_fork 0.5, s[4:5]            ; encoding: [0xf0,0x04,0x80,0x95]

s_cbranch_g_fork exec, s[4:5]
// CHECK: s_cbranch_g_fork exec, s[4:5]           ; encoding: [0x7e,0x04,0x80,0x95]

s_cbranch_g_fork flat_scratch, s[4:5]
// CHECK: s_cbranch_g_fork flat_scratch, s[4:5]   ; encoding: [0x68,0x04,0x80,0x95]

s_cbranch_g_fork s[102:103], s[4:5]
// CHECK: s_cbranch_g_fork s[102:103], s[4:5]     ; encoding: [0x66,0x04,0x80,0x95]

s_cbranch_g_fork s[2:3], -1
// CHECK: s_cbranch_g_fork s[2:3], -1             ; encoding: [0x02,0xc1,0x80,0x95]

s_cbranch_g_fork s[2:3], -4.0
// CHECK: s_cbranch_g_fork s[2:3], -4.0           ; encoding: [0x02,0xf7,0x80,0x95]

s_cbranch_g_fork s[2:3], 0
// CHECK: s_cbranch_g_fork s[2:3], 0              ; encoding: [0x02,0x80,0x80,0x95]

s_cbranch_g_fork s[2:3], 0.5
// CHECK: s_cbranch_g_fork s[2:3], 0.5            ; encoding: [0x02,0xf0,0x80,0x95]

s_cbranch_g_fork s[2:3], exec
// CHECK: s_cbranch_g_fork s[2:3], exec           ; encoding: [0x02,0x7e,0x80,0x95]

s_cbranch_g_fork s[2:3], flat_scratch
// CHECK: s_cbranch_g_fork s[2:3], flat_scratch   ; encoding: [0x02,0x68,0x80,0x95]

s_cbranch_g_fork s[2:3], s[102:103]
// CHECK: s_cbranch_g_fork s[2:3], s[102:103]     ; encoding: [0x02,0x66,0x80,0x95]

s_cbranch_g_fork s[2:3], s[4:5]
// CHECK: s_cbranch_g_fork s[2:3], s[4:5]         ; encoding: [0x02,0x04,0x80,0x95]

s_cbranch_g_fork s[2:3], s[6:7]
// CHECK: s_cbranch_g_fork s[2:3], s[6:7]         ; encoding: [0x02,0x06,0x80,0x95]

s_cbranch_g_fork s[2:3], src_execz
// CHECK: s_cbranch_g_fork s[2:3], src_execz      ; encoding: [0x02,0xfc,0x80,0x95]

s_cbranch_g_fork s[2:3], src_scc
// CHECK: s_cbranch_g_fork s[2:3], src_scc        ; encoding: [0x02,0xfd,0x80,0x95]

s_cbranch_g_fork s[2:3], src_vccz
// CHECK: s_cbranch_g_fork s[2:3], src_vccz       ; encoding: [0x02,0xfb,0x80,0x95]

s_cbranch_g_fork s[2:3], tba
// CHECK: s_cbranch_g_fork s[2:3], tba            ; encoding: [0x02,0x6c,0x80,0x95]

s_cbranch_g_fork s[2:3], tma
// CHECK: s_cbranch_g_fork s[2:3], tma            ; encoding: [0x02,0x6e,0x80,0x95]

s_cbranch_g_fork s[2:3], ttmp[10:11]
// CHECK: s_cbranch_g_fork s[2:3], ttmp[10:11]    ; encoding: [0x02,0x7a,0x80,0x95]

s_cbranch_g_fork s[2:3], vcc
// CHECK: s_cbranch_g_fork s[2:3], vcc            ; encoding: [0x02,0x6a,0x80,0x95]

s_cbranch_g_fork s[4:5], s[4:5]
// CHECK: s_cbranch_g_fork s[4:5], s[4:5]         ; encoding: [0x04,0x04,0x80,0x95]

s_cbranch_g_fork src_execz, s[4:5]
// CHECK: s_cbranch_g_fork src_execz, s[4:5]      ; encoding: [0xfc,0x04,0x80,0x95]

s_cbranch_g_fork src_scc, s[4:5]
// CHECK: s_cbranch_g_fork src_scc, s[4:5]        ; encoding: [0xfd,0x04,0x80,0x95]

s_cbranch_g_fork src_vccz, s[4:5]
// CHECK: s_cbranch_g_fork src_vccz, s[4:5]       ; encoding: [0xfb,0x04,0x80,0x95]

s_cbranch_g_fork tba, s[4:5]
// CHECK: s_cbranch_g_fork tba, s[4:5]            ; encoding: [0x6c,0x04,0x80,0x95]

s_cbranch_g_fork tma, s[4:5]
// CHECK: s_cbranch_g_fork tma, s[4:5]            ; encoding: [0x6e,0x04,0x80,0x95]

s_cbranch_g_fork ttmp[10:11], s[4:5]
// CHECK: s_cbranch_g_fork ttmp[10:11], s[4:5]    ; encoding: [0x7a,0x04,0x80,0x95]

s_cbranch_g_fork vcc, s[4:5]
// CHECK: s_cbranch_g_fork vcc, s[4:5]            ; encoding: [0x6a,0x04,0x80,0x95]

s_cselect_b32 exec_hi, s1, s2
// CHECK: s_cselect_b32 exec_hi, s1, s2           ; encoding: [0x01,0x02,0x7f,0x85]

s_cselect_b32 exec_lo, s1, s2
// CHECK: s_cselect_b32 exec_lo, s1, s2           ; encoding: [0x01,0x02,0x7e,0x85]

s_cselect_b32 flat_scratch_hi, s1, s2
// CHECK: s_cselect_b32 flat_scratch_hi, s1, s2   ; encoding: [0x01,0x02,0x69,0x85]

s_cselect_b32 flat_scratch_lo, s1, s2
// CHECK: s_cselect_b32 flat_scratch_lo, s1, s2   ; encoding: [0x01,0x02,0x68,0x85]

s_cselect_b32 m0, s1, s2
// CHECK: s_cselect_b32 m0, s1, s2                ; encoding: [0x01,0x02,0x7c,0x85]

s_cselect_b32 s103, s1, s2
// CHECK: s_cselect_b32 s103, s1, s2              ; encoding: [0x01,0x02,0x67,0x85]

s_cselect_b32 s5, -1, s2
// CHECK: s_cselect_b32 s5, -1, s2                ; encoding: [0xc1,0x02,0x05,0x85]

s_cselect_b32 s5, -4.0, s2
// CHECK: s_cselect_b32 s5, -4.0, s2              ; encoding: [0xf7,0x02,0x05,0x85]

s_cselect_b32 s5, 0, s2
// CHECK: s_cselect_b32 s5, 0, s2                 ; encoding: [0x80,0x02,0x05,0x85]

s_cselect_b32 s5, 0.5, s2
// CHECK: s_cselect_b32 s5, 0.5, s2               ; encoding: [0xf0,0x02,0x05,0x85]

s_cselect_b32 s5, 0x3f717273, s2
// CHECK: s_cselect_b32 s5, 0x3f717273, s2        ; encoding: [0xff,0x02,0x05,0x85,0x73,0x72,0x71,0x3f]

s_cselect_b32 s5, 0xaf123456, s2
// CHECK: s_cselect_b32 s5, 0xaf123456, s2        ; encoding: [0xff,0x02,0x05,0x85,0x56,0x34,0x12,0xaf]

s_cselect_b32 s5, exec_hi, s2
// CHECK: s_cselect_b32 s5, exec_hi, s2           ; encoding: [0x7f,0x02,0x05,0x85]

s_cselect_b32 s5, exec_lo, s2
// CHECK: s_cselect_b32 s5, exec_lo, s2           ; encoding: [0x7e,0x02,0x05,0x85]

s_cselect_b32 s5, flat_scratch_hi, s2
// CHECK: s_cselect_b32 s5, flat_scratch_hi, s2   ; encoding: [0x69,0x02,0x05,0x85]

s_cselect_b32 s5, flat_scratch_lo, s2
// CHECK: s_cselect_b32 s5, flat_scratch_lo, s2   ; encoding: [0x68,0x02,0x05,0x85]

s_cselect_b32 s5, m0, s2
// CHECK: s_cselect_b32 s5, m0, s2                ; encoding: [0x7c,0x02,0x05,0x85]

s_cselect_b32 s5, s1, -1
// CHECK: s_cselect_b32 s5, s1, -1                ; encoding: [0x01,0xc1,0x05,0x85]

s_cselect_b32 s5, s1, -4.0
// CHECK: s_cselect_b32 s5, s1, -4.0              ; encoding: [0x01,0xf7,0x05,0x85]

s_cselect_b32 s5, s1, 0
// CHECK: s_cselect_b32 s5, s1, 0                 ; encoding: [0x01,0x80,0x05,0x85]

s_cselect_b32 s5, s1, 0.5
// CHECK: s_cselect_b32 s5, s1, 0.5               ; encoding: [0x01,0xf0,0x05,0x85]

s_cselect_b32 s5, s1, 0x3f717273
// CHECK: s_cselect_b32 s5, s1, 0x3f717273        ; encoding: [0x01,0xff,0x05,0x85,0x73,0x72,0x71,0x3f]

s_cselect_b32 s5, s1, 0xaf123456
// CHECK: s_cselect_b32 s5, s1, 0xaf123456        ; encoding: [0x01,0xff,0x05,0x85,0x56,0x34,0x12,0xaf]

s_cselect_b32 s5, s1, exec_hi
// CHECK: s_cselect_b32 s5, s1, exec_hi           ; encoding: [0x01,0x7f,0x05,0x85]

s_cselect_b32 s5, s1, exec_lo
// CHECK: s_cselect_b32 s5, s1, exec_lo           ; encoding: [0x01,0x7e,0x05,0x85]

s_cselect_b32 s5, s1, flat_scratch_hi
// CHECK: s_cselect_b32 s5, s1, flat_scratch_hi   ; encoding: [0x01,0x69,0x05,0x85]

s_cselect_b32 s5, s1, flat_scratch_lo
// CHECK: s_cselect_b32 s5, s1, flat_scratch_lo   ; encoding: [0x01,0x68,0x05,0x85]

s_cselect_b32 s5, s1, m0
// CHECK: s_cselect_b32 s5, s1, m0                ; encoding: [0x01,0x7c,0x05,0x85]

s_cselect_b32 s5, s1, s103
// CHECK: s_cselect_b32 s5, s1, s103              ; encoding: [0x01,0x67,0x05,0x85]

s_cselect_b32 s5, s1, s2
// CHECK: s_cselect_b32 s5, s1, s2                ; encoding: [0x01,0x02,0x05,0x85]

s_cselect_b32 s5, s1, src_execz
// CHECK: s_cselect_b32 s5, s1, src_execz         ; encoding: [0x01,0xfc,0x05,0x85]

s_cselect_b32 s5, s1, src_scc
// CHECK: s_cselect_b32 s5, s1, src_scc           ; encoding: [0x01,0xfd,0x05,0x85]

s_cselect_b32 s5, s1, src_vccz
// CHECK: s_cselect_b32 s5, s1, src_vccz          ; encoding: [0x01,0xfb,0x05,0x85]

s_cselect_b32 s5, s1, tba_hi
// CHECK: s_cselect_b32 s5, s1, tba_hi            ; encoding: [0x01,0x6d,0x05,0x85]

s_cselect_b32 s5, s1, tba_lo
// CHECK: s_cselect_b32 s5, s1, tba_lo            ; encoding: [0x01,0x6c,0x05,0x85]

s_cselect_b32 s5, s1, tma_hi
// CHECK: s_cselect_b32 s5, s1, tma_hi            ; encoding: [0x01,0x6f,0x05,0x85]

s_cselect_b32 s5, s1, tma_lo
// CHECK: s_cselect_b32 s5, s1, tma_lo            ; encoding: [0x01,0x6e,0x05,0x85]

s_cselect_b32 s5, s1, ttmp11
// CHECK: s_cselect_b32 s5, s1, ttmp11            ; encoding: [0x01,0x7b,0x05,0x85]

s_cselect_b32 s5, s1, vcc_hi
// CHECK: s_cselect_b32 s5, s1, vcc_hi            ; encoding: [0x01,0x6b,0x05,0x85]

s_cselect_b32 s5, s1, vcc_lo
// CHECK: s_cselect_b32 s5, s1, vcc_lo            ; encoding: [0x01,0x6a,0x05,0x85]

s_cselect_b32 s5, s103, s2
// CHECK: s_cselect_b32 s5, s103, s2              ; encoding: [0x67,0x02,0x05,0x85]

s_cselect_b32 s5, src_execz, s2
// CHECK: s_cselect_b32 s5, src_execz, s2         ; encoding: [0xfc,0x02,0x05,0x85]

s_cselect_b32 s5, src_scc, s2
// CHECK: s_cselect_b32 s5, src_scc, s2           ; encoding: [0xfd,0x02,0x05,0x85]

s_cselect_b32 s5, src_vccz, s2
// CHECK: s_cselect_b32 s5, src_vccz, s2          ; encoding: [0xfb,0x02,0x05,0x85]

s_cselect_b32 s5, tba_hi, s2
// CHECK: s_cselect_b32 s5, tba_hi, s2            ; encoding: [0x6d,0x02,0x05,0x85]

s_cselect_b32 s5, tba_lo, s2
// CHECK: s_cselect_b32 s5, tba_lo, s2            ; encoding: [0x6c,0x02,0x05,0x85]

s_cselect_b32 s5, tma_hi, s2
// CHECK: s_cselect_b32 s5, tma_hi, s2            ; encoding: [0x6f,0x02,0x05,0x85]

s_cselect_b32 s5, tma_lo, s2
// CHECK: s_cselect_b32 s5, tma_lo, s2            ; encoding: [0x6e,0x02,0x05,0x85]

s_cselect_b32 s5, ttmp11, s2
// CHECK: s_cselect_b32 s5, ttmp11, s2            ; encoding: [0x7b,0x02,0x05,0x85]

s_cselect_b32 s5, vcc_hi, s2
// CHECK: s_cselect_b32 s5, vcc_hi, s2            ; encoding: [0x6b,0x02,0x05,0x85]

s_cselect_b32 s5, vcc_lo, s2
// CHECK: s_cselect_b32 s5, vcc_lo, s2            ; encoding: [0x6a,0x02,0x05,0x85]

s_cselect_b32 tba_hi, s1, s2
// CHECK: s_cselect_b32 tba_hi, s1, s2            ; encoding: [0x01,0x02,0x6d,0x85]

s_cselect_b32 tba_lo, s1, s2
// CHECK: s_cselect_b32 tba_lo, s1, s2            ; encoding: [0x01,0x02,0x6c,0x85]

s_cselect_b32 tma_hi, s1, s2
// CHECK: s_cselect_b32 tma_hi, s1, s2            ; encoding: [0x01,0x02,0x6f,0x85]

s_cselect_b32 tma_lo, s1, s2
// CHECK: s_cselect_b32 tma_lo, s1, s2            ; encoding: [0x01,0x02,0x6e,0x85]

s_cselect_b32 ttmp11, s1, s2
// CHECK: s_cselect_b32 ttmp11, s1, s2            ; encoding: [0x01,0x02,0x7b,0x85]

s_cselect_b32 vcc_hi, s1, s2
// CHECK: s_cselect_b32 vcc_hi, s1, s2            ; encoding: [0x01,0x02,0x6b,0x85]

s_cselect_b32 vcc_lo, s1, s2
// CHECK: s_cselect_b32 vcc_lo, s1, s2            ; encoding: [0x01,0x02,0x6a,0x85]

s_cselect_b64 exec, s[2:3], s[4:5]
// CHECK: s_cselect_b64 exec, s[2:3], s[4:5]      ; encoding: [0x02,0x04,0xfe,0x85]

s_cselect_b64 flat_scratch, s[2:3], s[4:5]
// CHECK: s_cselect_b64 flat_scratch, s[2:3], s[4:5] ; encoding: [0x02,0x04,0xe8,0x85]

s_cselect_b64 s[102:103], s[2:3], s[4:5]
// CHECK: s_cselect_b64 s[102:103], s[2:3], s[4:5] ; encoding: [0x02,0x04,0xe6,0x85]

s_cselect_b64 s[10:11], -1, s[4:5]
// CHECK: s_cselect_b64 s[10:11], -1, s[4:5]      ; encoding: [0xc1,0x04,0x8a,0x85]

s_cselect_b64 s[10:11], -4.0, s[4:5]
// CHECK: s_cselect_b64 s[10:11], -4.0, s[4:5]    ; encoding: [0xf7,0x04,0x8a,0x85]

s_cselect_b64 s[10:11], 0, s[4:5]
// CHECK: s_cselect_b64 s[10:11], 0, s[4:5]       ; encoding: [0x80,0x04,0x8a,0x85]

s_cselect_b64 s[10:11], 0.5, s[4:5]
// CHECK: s_cselect_b64 s[10:11], 0.5, s[4:5]     ; encoding: [0xf0,0x04,0x8a,0x85]

s_cselect_b64 s[10:11], 0x3f717273, s[4:5]
// CHECK: s_cselect_b64 s[10:11], 0x3f717273, s[4:5] ; encoding: [0xff,0x04,0x8a,0x85,0x73,0x72,0x71,0x3f]

s_cselect_b64 s[10:11], 0xaf123456, s[4:5]
// CHECK: s_cselect_b64 s[10:11], 0xaf123456, s[4:5] ; encoding: [0xff,0x04,0x8a,0x85,0x56,0x34,0x12,0xaf]

s_cselect_b64 s[10:11], exec, s[4:5]
// CHECK: s_cselect_b64 s[10:11], exec, s[4:5]    ; encoding: [0x7e,0x04,0x8a,0x85]

s_cselect_b64 s[10:11], flat_scratch, s[4:5]
// CHECK: s_cselect_b64 s[10:11], flat_scratch, s[4:5] ; encoding: [0x68,0x04,0x8a,0x85]

s_cselect_b64 s[10:11], s[102:103], s[4:5]
// CHECK: s_cselect_b64 s[10:11], s[102:103], s[4:5] ; encoding: [0x66,0x04,0x8a,0x85]

s_cselect_b64 s[10:11], s[2:3], -1
// CHECK: s_cselect_b64 s[10:11], s[2:3], -1      ; encoding: [0x02,0xc1,0x8a,0x85]

s_cselect_b64 s[10:11], s[2:3], -4.0
// CHECK: s_cselect_b64 s[10:11], s[2:3], -4.0    ; encoding: [0x02,0xf7,0x8a,0x85]

s_cselect_b64 s[10:11], s[2:3], 0
// CHECK: s_cselect_b64 s[10:11], s[2:3], 0       ; encoding: [0x02,0x80,0x8a,0x85]

s_cselect_b64 s[10:11], s[2:3], 0.5
// CHECK: s_cselect_b64 s[10:11], s[2:3], 0.5     ; encoding: [0x02,0xf0,0x8a,0x85]

s_cselect_b64 s[10:11], s[2:3], 0x3f717273
// CHECK: s_cselect_b64 s[10:11], s[2:3], 0x3f717273 ; encoding: [0x02,0xff,0x8a,0x85,0x73,0x72,0x71,0x3f]

s_cselect_b64 s[10:11], s[2:3], 0xaf123456
// CHECK: s_cselect_b64 s[10:11], s[2:3], 0xaf123456 ; encoding: [0x02,0xff,0x8a,0x85,0x56,0x34,0x12,0xaf]

s_cselect_b64 s[10:11], s[2:3], exec
// CHECK: s_cselect_b64 s[10:11], s[2:3], exec    ; encoding: [0x02,0x7e,0x8a,0x85]

s_cselect_b64 s[10:11], s[2:3], flat_scratch
// CHECK: s_cselect_b64 s[10:11], s[2:3], flat_scratch ; encoding: [0x02,0x68,0x8a,0x85]

s_cselect_b64 s[10:11], s[2:3], s[102:103]
// CHECK: s_cselect_b64 s[10:11], s[2:3], s[102:103] ; encoding: [0x02,0x66,0x8a,0x85]

s_cselect_b64 s[10:11], s[2:3], s[4:5]
// CHECK: s_cselect_b64 s[10:11], s[2:3], s[4:5]  ; encoding: [0x02,0x04,0x8a,0x85]

s_cselect_b64 s[10:11], s[2:3], s[6:7]
// CHECK: s_cselect_b64 s[10:11], s[2:3], s[6:7]  ; encoding: [0x02,0x06,0x8a,0x85]

s_cselect_b64 s[10:11], s[2:3], src_execz
// CHECK: s_cselect_b64 s[10:11], s[2:3], src_execz ; encoding: [0x02,0xfc,0x8a,0x85]

s_cselect_b64 s[10:11], s[2:3], src_scc
// CHECK: s_cselect_b64 s[10:11], s[2:3], src_scc ; encoding: [0x02,0xfd,0x8a,0x85]

s_cselect_b64 s[10:11], s[2:3], src_vccz
// CHECK: s_cselect_b64 s[10:11], s[2:3], src_vccz ; encoding: [0x02,0xfb,0x8a,0x85]

s_cselect_b64 s[10:11], s[2:3], tba
// CHECK: s_cselect_b64 s[10:11], s[2:3], tba     ; encoding: [0x02,0x6c,0x8a,0x85]

s_cselect_b64 s[10:11], s[2:3], tma
// CHECK: s_cselect_b64 s[10:11], s[2:3], tma     ; encoding: [0x02,0x6e,0x8a,0x85]

s_cselect_b64 s[10:11], s[2:3], ttmp[10:11]
// CHECK: s_cselect_b64 s[10:11], s[2:3], ttmp[10:11] ; encoding: [0x02,0x7a,0x8a,0x85]

s_cselect_b64 s[10:11], s[2:3], vcc
// CHECK: s_cselect_b64 s[10:11], s[2:3], vcc     ; encoding: [0x02,0x6a,0x8a,0x85]

s_cselect_b64 s[10:11], s[4:5], s[4:5]
// CHECK: s_cselect_b64 s[10:11], s[4:5], s[4:5]  ; encoding: [0x04,0x04,0x8a,0x85]

s_cselect_b64 s[10:11], src_execz, s[4:5]
// CHECK: s_cselect_b64 s[10:11], src_execz, s[4:5] ; encoding: [0xfc,0x04,0x8a,0x85]

s_cselect_b64 s[10:11], src_scc, s[4:5]
// CHECK: s_cselect_b64 s[10:11], src_scc, s[4:5] ; encoding: [0xfd,0x04,0x8a,0x85]

s_cselect_b64 s[10:11], src_vccz, s[4:5]
// CHECK: s_cselect_b64 s[10:11], src_vccz, s[4:5] ; encoding: [0xfb,0x04,0x8a,0x85]

s_cselect_b64 s[10:11], tba, s[4:5]
// CHECK: s_cselect_b64 s[10:11], tba, s[4:5]     ; encoding: [0x6c,0x04,0x8a,0x85]

s_cselect_b64 s[10:11], tma, s[4:5]
// CHECK: s_cselect_b64 s[10:11], tma, s[4:5]     ; encoding: [0x6e,0x04,0x8a,0x85]

s_cselect_b64 s[10:11], ttmp[10:11], s[4:5]
// CHECK: s_cselect_b64 s[10:11], ttmp[10:11], s[4:5] ; encoding: [0x7a,0x04,0x8a,0x85]

s_cselect_b64 s[10:11], vcc, s[4:5]
// CHECK: s_cselect_b64 s[10:11], vcc, s[4:5]     ; encoding: [0x6a,0x04,0x8a,0x85]

s_cselect_b64 s[12:13], s[2:3], s[4:5]
// CHECK: s_cselect_b64 s[12:13], s[2:3], s[4:5]  ; encoding: [0x02,0x04,0x8c,0x85]

s_cselect_b64 tba, s[2:3], s[4:5]
// CHECK: s_cselect_b64 tba, s[2:3], s[4:5]       ; encoding: [0x02,0x04,0xec,0x85]

s_cselect_b64 tma, s[2:3], s[4:5]
// CHECK: s_cselect_b64 tma, s[2:3], s[4:5]       ; encoding: [0x02,0x04,0xee,0x85]

s_cselect_b64 ttmp[10:11], s[2:3], s[4:5]
// CHECK: s_cselect_b64 ttmp[10:11], s[2:3], s[4:5] ; encoding: [0x02,0x04,0xfa,0x85]

s_cselect_b64 vcc, s[2:3], s[4:5]
// CHECK: s_cselect_b64 vcc, s[2:3], s[4:5]       ; encoding: [0x02,0x04,0xea,0x85]

s_lshl_b32 exec_hi, s1, s2
// CHECK: s_lshl_b32 exec_hi, s1, s2              ; encoding: [0x01,0x02,0x7f,0x8f]

s_lshl_b32 exec_lo, s1, s2
// CHECK: s_lshl_b32 exec_lo, s1, s2              ; encoding: [0x01,0x02,0x7e,0x8f]

s_lshl_b32 flat_scratch_hi, s1, s2
// CHECK: s_lshl_b32 flat_scratch_hi, s1, s2      ; encoding: [0x01,0x02,0x69,0x8f]

s_lshl_b32 flat_scratch_lo, s1, s2
// CHECK: s_lshl_b32 flat_scratch_lo, s1, s2      ; encoding: [0x01,0x02,0x68,0x8f]

s_lshl_b32 m0, s1, s2
// CHECK: s_lshl_b32 m0, s1, s2                   ; encoding: [0x01,0x02,0x7c,0x8f]

s_lshl_b32 s103, s1, s2
// CHECK: s_lshl_b32 s103, s1, s2                 ; encoding: [0x01,0x02,0x67,0x8f]

s_lshl_b32 s5, -1, s2
// CHECK: s_lshl_b32 s5, -1, s2                   ; encoding: [0xc1,0x02,0x05,0x8f]

s_lshl_b32 s5, -4.0, s2
// CHECK: s_lshl_b32 s5, -4.0, s2                 ; encoding: [0xf7,0x02,0x05,0x8f]

s_lshl_b32 s5, 0, s2
// CHECK: s_lshl_b32 s5, 0, s2                    ; encoding: [0x80,0x02,0x05,0x8f]

s_lshl_b32 s5, 0.5, s2
// CHECK: s_lshl_b32 s5, 0.5, s2                  ; encoding: [0xf0,0x02,0x05,0x8f]

s_lshl_b32 s5, 0x3f717273, s2
// CHECK: s_lshl_b32 s5, 0x3f717273, s2           ; encoding: [0xff,0x02,0x05,0x8f,0x73,0x72,0x71,0x3f]

s_lshl_b32 s5, 0xaf123456, s2
// CHECK: s_lshl_b32 s5, 0xaf123456, s2           ; encoding: [0xff,0x02,0x05,0x8f,0x56,0x34,0x12,0xaf]

s_lshl_b32 s5, exec_hi, s2
// CHECK: s_lshl_b32 s5, exec_hi, s2              ; encoding: [0x7f,0x02,0x05,0x8f]

s_lshl_b32 s5, exec_lo, s2
// CHECK: s_lshl_b32 s5, exec_lo, s2              ; encoding: [0x7e,0x02,0x05,0x8f]

s_lshl_b32 s5, flat_scratch_hi, s2
// CHECK: s_lshl_b32 s5, flat_scratch_hi, s2      ; encoding: [0x69,0x02,0x05,0x8f]

s_lshl_b32 s5, flat_scratch_lo, s2
// CHECK: s_lshl_b32 s5, flat_scratch_lo, s2      ; encoding: [0x68,0x02,0x05,0x8f]

s_lshl_b32 s5, m0, s2
// CHECK: s_lshl_b32 s5, m0, s2                   ; encoding: [0x7c,0x02,0x05,0x8f]

s_lshl_b32 s5, s1, -1
// CHECK: s_lshl_b32 s5, s1, -1                   ; encoding: [0x01,0xc1,0x05,0x8f]

s_lshl_b32 s5, s1, -4.0
// CHECK: s_lshl_b32 s5, s1, -4.0                 ; encoding: [0x01,0xf7,0x05,0x8f]

s_lshl_b32 s5, s1, 0
// CHECK: s_lshl_b32 s5, s1, 0                    ; encoding: [0x01,0x80,0x05,0x8f]

s_lshl_b32 s5, s1, 0.5
// CHECK: s_lshl_b32 s5, s1, 0.5                  ; encoding: [0x01,0xf0,0x05,0x8f]

s_lshl_b32 s5, s1, 0x3f717273
// CHECK: s_lshl_b32 s5, s1, 0x3f717273           ; encoding: [0x01,0xff,0x05,0x8f,0x73,0x72,0x71,0x3f]

s_lshl_b32 s5, s1, 0xaf123456
// CHECK: s_lshl_b32 s5, s1, 0xaf123456           ; encoding: [0x01,0xff,0x05,0x8f,0x56,0x34,0x12,0xaf]

s_lshl_b32 s5, s1, exec_hi
// CHECK: s_lshl_b32 s5, s1, exec_hi              ; encoding: [0x01,0x7f,0x05,0x8f]

s_lshl_b32 s5, s1, exec_lo
// CHECK: s_lshl_b32 s5, s1, exec_lo              ; encoding: [0x01,0x7e,0x05,0x8f]

s_lshl_b32 s5, s1, flat_scratch_hi
// CHECK: s_lshl_b32 s5, s1, flat_scratch_hi      ; encoding: [0x01,0x69,0x05,0x8f]

s_lshl_b32 s5, s1, flat_scratch_lo
// CHECK: s_lshl_b32 s5, s1, flat_scratch_lo      ; encoding: [0x01,0x68,0x05,0x8f]

s_lshl_b32 s5, s1, m0
// CHECK: s_lshl_b32 s5, s1, m0                   ; encoding: [0x01,0x7c,0x05,0x8f]

s_lshl_b32 s5, s1, s103
// CHECK: s_lshl_b32 s5, s1, s103                 ; encoding: [0x01,0x67,0x05,0x8f]

s_lshl_b32 s5, s1, s2
// CHECK: s_lshl_b32 s5, s1, s2                   ; encoding: [0x01,0x02,0x05,0x8f]

s_lshl_b32 s5, s1, src_execz
// CHECK: s_lshl_b32 s5, s1, src_execz            ; encoding: [0x01,0xfc,0x05,0x8f]

s_lshl_b32 s5, s1, src_scc
// CHECK: s_lshl_b32 s5, s1, src_scc              ; encoding: [0x01,0xfd,0x05,0x8f]

s_lshl_b32 s5, s1, src_vccz
// CHECK: s_lshl_b32 s5, s1, src_vccz             ; encoding: [0x01,0xfb,0x05,0x8f]

s_lshl_b32 s5, s1, tba_hi
// CHECK: s_lshl_b32 s5, s1, tba_hi               ; encoding: [0x01,0x6d,0x05,0x8f]

s_lshl_b32 s5, s1, tba_lo
// CHECK: s_lshl_b32 s5, s1, tba_lo               ; encoding: [0x01,0x6c,0x05,0x8f]

s_lshl_b32 s5, s1, tma_hi
// CHECK: s_lshl_b32 s5, s1, tma_hi               ; encoding: [0x01,0x6f,0x05,0x8f]

s_lshl_b32 s5, s1, tma_lo
// CHECK: s_lshl_b32 s5, s1, tma_lo               ; encoding: [0x01,0x6e,0x05,0x8f]

s_lshl_b32 s5, s1, ttmp11
// CHECK: s_lshl_b32 s5, s1, ttmp11               ; encoding: [0x01,0x7b,0x05,0x8f]

s_lshl_b32 s5, s1, vcc_hi
// CHECK: s_lshl_b32 s5, s1, vcc_hi               ; encoding: [0x01,0x6b,0x05,0x8f]

s_lshl_b32 s5, s1, vcc_lo
// CHECK: s_lshl_b32 s5, s1, vcc_lo               ; encoding: [0x01,0x6a,0x05,0x8f]

s_lshl_b32 s5, s103, s2
// CHECK: s_lshl_b32 s5, s103, s2                 ; encoding: [0x67,0x02,0x05,0x8f]

s_lshl_b32 s5, src_execz, s2
// CHECK: s_lshl_b32 s5, src_execz, s2            ; encoding: [0xfc,0x02,0x05,0x8f]

s_lshl_b32 s5, src_scc, s2
// CHECK: s_lshl_b32 s5, src_scc, s2              ; encoding: [0xfd,0x02,0x05,0x8f]

s_lshl_b32 s5, src_vccz, s2
// CHECK: s_lshl_b32 s5, src_vccz, s2             ; encoding: [0xfb,0x02,0x05,0x8f]

s_lshl_b32 s5, tba_hi, s2
// CHECK: s_lshl_b32 s5, tba_hi, s2               ; encoding: [0x6d,0x02,0x05,0x8f]

s_lshl_b32 s5, tba_lo, s2
// CHECK: s_lshl_b32 s5, tba_lo, s2               ; encoding: [0x6c,0x02,0x05,0x8f]

s_lshl_b32 s5, tma_hi, s2
// CHECK: s_lshl_b32 s5, tma_hi, s2               ; encoding: [0x6f,0x02,0x05,0x8f]

s_lshl_b32 s5, tma_lo, s2
// CHECK: s_lshl_b32 s5, tma_lo, s2               ; encoding: [0x6e,0x02,0x05,0x8f]

s_lshl_b32 s5, ttmp11, s2
// CHECK: s_lshl_b32 s5, ttmp11, s2               ; encoding: [0x7b,0x02,0x05,0x8f]

s_lshl_b32 s5, vcc_hi, s2
// CHECK: s_lshl_b32 s5, vcc_hi, s2               ; encoding: [0x6b,0x02,0x05,0x8f]

s_lshl_b32 s5, vcc_lo, s2
// CHECK: s_lshl_b32 s5, vcc_lo, s2               ; encoding: [0x6a,0x02,0x05,0x8f]

s_lshl_b32 tba_hi, s1, s2
// CHECK: s_lshl_b32 tba_hi, s1, s2               ; encoding: [0x01,0x02,0x6d,0x8f]

s_lshl_b32 tba_lo, s1, s2
// CHECK: s_lshl_b32 tba_lo, s1, s2               ; encoding: [0x01,0x02,0x6c,0x8f]

s_lshl_b32 tma_hi, s1, s2
// CHECK: s_lshl_b32 tma_hi, s1, s2               ; encoding: [0x01,0x02,0x6f,0x8f]

s_lshl_b32 tma_lo, s1, s2
// CHECK: s_lshl_b32 tma_lo, s1, s2               ; encoding: [0x01,0x02,0x6e,0x8f]

s_lshl_b32 ttmp11, s1, s2
// CHECK: s_lshl_b32 ttmp11, s1, s2               ; encoding: [0x01,0x02,0x7b,0x8f]

s_lshl_b32 vcc_hi, s1, s2
// CHECK: s_lshl_b32 vcc_hi, s1, s2               ; encoding: [0x01,0x02,0x6b,0x8f]

s_lshl_b32 vcc_lo, s1, s2
// CHECK: s_lshl_b32 vcc_lo, s1, s2               ; encoding: [0x01,0x02,0x6a,0x8f]

s_lshl_b64 exec, s[2:3], s2
// CHECK: s_lshl_b64 exec, s[2:3], s2             ; encoding: [0x02,0x02,0xfe,0x8f]

s_lshl_b64 flat_scratch, s[2:3], s2
// CHECK: s_lshl_b64 flat_scratch, s[2:3], s2     ; encoding: [0x02,0x02,0xe8,0x8f]

s_lshl_b64 s[102:103], s[2:3], s2
// CHECK: s_lshl_b64 s[102:103], s[2:3], s2       ; encoding: [0x02,0x02,0xe6,0x8f]

s_lshl_b64 s[10:11], -1, s2
// CHECK: s_lshl_b64 s[10:11], -1, s2             ; encoding: [0xc1,0x02,0x8a,0x8f]

s_lshl_b64 s[10:11], -4.0, s2
// CHECK: s_lshl_b64 s[10:11], -4.0, s2           ; encoding: [0xf7,0x02,0x8a,0x8f]

s_lshl_b64 s[10:11], 0, s2
// CHECK: s_lshl_b64 s[10:11], 0, s2              ; encoding: [0x80,0x02,0x8a,0x8f]

s_lshl_b64 s[10:11], 0.5, s2
// CHECK: s_lshl_b64 s[10:11], 0.5, s2            ; encoding: [0xf0,0x02,0x8a,0x8f]

s_lshl_b64 s[10:11], 0x3f717273, s2
// CHECK: s_lshl_b64 s[10:11], 0x3f717273, s2     ; encoding: [0xff,0x02,0x8a,0x8f,0x73,0x72,0x71,0x3f]

s_lshl_b64 s[10:11], 0xaf123456, s2
// CHECK: s_lshl_b64 s[10:11], 0xaf123456, s2     ; encoding: [0xff,0x02,0x8a,0x8f,0x56,0x34,0x12,0xaf]

s_lshl_b64 s[10:11], exec, s2
// CHECK: s_lshl_b64 s[10:11], exec, s2           ; encoding: [0x7e,0x02,0x8a,0x8f]

s_lshl_b64 s[10:11], flat_scratch, s2
// CHECK: s_lshl_b64 s[10:11], flat_scratch, s2   ; encoding: [0x68,0x02,0x8a,0x8f]

s_lshl_b64 s[10:11], s[102:103], s2
// CHECK: s_lshl_b64 s[10:11], s[102:103], s2     ; encoding: [0x66,0x02,0x8a,0x8f]

s_lshl_b64 s[10:11], s[2:3], -1
// CHECK: s_lshl_b64 s[10:11], s[2:3], -1         ; encoding: [0x02,0xc1,0x8a,0x8f]

s_lshl_b64 s[10:11], s[2:3], -4.0
// CHECK: s_lshl_b64 s[10:11], s[2:3], -4.0       ; encoding: [0x02,0xf7,0x8a,0x8f]

s_lshl_b64 s[10:11], s[2:3], 0
// CHECK: s_lshl_b64 s[10:11], s[2:3], 0          ; encoding: [0x02,0x80,0x8a,0x8f]

s_lshl_b64 s[10:11], s[2:3], 0.5
// CHECK: s_lshl_b64 s[10:11], s[2:3], 0.5        ; encoding: [0x02,0xf0,0x8a,0x8f]

s_lshl_b64 s[10:11], s[2:3], 0x3f717273
// CHECK: s_lshl_b64 s[10:11], s[2:3], 0x3f717273 ; encoding: [0x02,0xff,0x8a,0x8f,0x73,0x72,0x71,0x3f]

s_lshl_b64 s[10:11], s[2:3], 0xaf123456
// CHECK: s_lshl_b64 s[10:11], s[2:3], 0xaf123456 ; encoding: [0x02,0xff,0x8a,0x8f,0x56,0x34,0x12,0xaf]

s_lshl_b64 s[10:11], s[2:3], exec_hi
// CHECK: s_lshl_b64 s[10:11], s[2:3], exec_hi    ; encoding: [0x02,0x7f,0x8a,0x8f]

s_lshl_b64 s[10:11], s[2:3], exec_lo
// CHECK: s_lshl_b64 s[10:11], s[2:3], exec_lo    ; encoding: [0x02,0x7e,0x8a,0x8f]

s_lshl_b64 s[10:11], s[2:3], flat_scratch_hi
// CHECK: s_lshl_b64 s[10:11], s[2:3], flat_scratch_hi ; encoding: [0x02,0x69,0x8a,0x8f]

s_lshl_b64 s[10:11], s[2:3], flat_scratch_lo
// CHECK: s_lshl_b64 s[10:11], s[2:3], flat_scratch_lo ; encoding: [0x02,0x68,0x8a,0x8f]

s_lshl_b64 s[10:11], s[2:3], m0
// CHECK: s_lshl_b64 s[10:11], s[2:3], m0         ; encoding: [0x02,0x7c,0x8a,0x8f]

s_lshl_b64 s[10:11], s[2:3], s103
// CHECK: s_lshl_b64 s[10:11], s[2:3], s103       ; encoding: [0x02,0x67,0x8a,0x8f]

s_lshl_b64 s[10:11], s[2:3], s2
// CHECK: s_lshl_b64 s[10:11], s[2:3], s2         ; encoding: [0x02,0x02,0x8a,0x8f]

s_lshl_b64 s[10:11], s[2:3], src_execz
// CHECK: s_lshl_b64 s[10:11], s[2:3], src_execz  ; encoding: [0x02,0xfc,0x8a,0x8f]

s_lshl_b64 s[10:11], s[2:3], src_scc
// CHECK: s_lshl_b64 s[10:11], s[2:3], src_scc    ; encoding: [0x02,0xfd,0x8a,0x8f]

s_lshl_b64 s[10:11], s[2:3], src_vccz
// CHECK: s_lshl_b64 s[10:11], s[2:3], src_vccz   ; encoding: [0x02,0xfb,0x8a,0x8f]

s_lshl_b64 s[10:11], s[2:3], tba_hi
// CHECK: s_lshl_b64 s[10:11], s[2:3], tba_hi     ; encoding: [0x02,0x6d,0x8a,0x8f]

s_lshl_b64 s[10:11], s[2:3], tba_lo
// CHECK: s_lshl_b64 s[10:11], s[2:3], tba_lo     ; encoding: [0x02,0x6c,0x8a,0x8f]

s_lshl_b64 s[10:11], s[2:3], tma_hi
// CHECK: s_lshl_b64 s[10:11], s[2:3], tma_hi     ; encoding: [0x02,0x6f,0x8a,0x8f]

s_lshl_b64 s[10:11], s[2:3], tma_lo
// CHECK: s_lshl_b64 s[10:11], s[2:3], tma_lo     ; encoding: [0x02,0x6e,0x8a,0x8f]

s_lshl_b64 s[10:11], s[2:3], ttmp11
// CHECK: s_lshl_b64 s[10:11], s[2:3], ttmp11     ; encoding: [0x02,0x7b,0x8a,0x8f]

s_lshl_b64 s[10:11], s[2:3], vcc_hi
// CHECK: s_lshl_b64 s[10:11], s[2:3], vcc_hi     ; encoding: [0x02,0x6b,0x8a,0x8f]

s_lshl_b64 s[10:11], s[2:3], vcc_lo
// CHECK: s_lshl_b64 s[10:11], s[2:3], vcc_lo     ; encoding: [0x02,0x6a,0x8a,0x8f]

s_lshl_b64 s[10:11], s[4:5], s2
// CHECK: s_lshl_b64 s[10:11], s[4:5], s2         ; encoding: [0x04,0x02,0x8a,0x8f]

s_lshl_b64 s[10:11], src_execz, s2
// CHECK: s_lshl_b64 s[10:11], src_execz, s2      ; encoding: [0xfc,0x02,0x8a,0x8f]

s_lshl_b64 s[10:11], src_scc, s2
// CHECK: s_lshl_b64 s[10:11], src_scc, s2        ; encoding: [0xfd,0x02,0x8a,0x8f]

s_lshl_b64 s[10:11], src_vccz, s2
// CHECK: s_lshl_b64 s[10:11], src_vccz, s2       ; encoding: [0xfb,0x02,0x8a,0x8f]

s_lshl_b64 s[10:11], tba, s2
// CHECK: s_lshl_b64 s[10:11], tba, s2            ; encoding: [0x6c,0x02,0x8a,0x8f]

s_lshl_b64 s[10:11], tma, s2
// CHECK: s_lshl_b64 s[10:11], tma, s2            ; encoding: [0x6e,0x02,0x8a,0x8f]

s_lshl_b64 s[10:11], ttmp[10:11], s2
// CHECK: s_lshl_b64 s[10:11], ttmp[10:11], s2    ; encoding: [0x7a,0x02,0x8a,0x8f]

s_lshl_b64 s[10:11], vcc, s2
// CHECK: s_lshl_b64 s[10:11], vcc, s2            ; encoding: [0x6a,0x02,0x8a,0x8f]

s_lshl_b64 s[12:13], s[2:3], s2
// CHECK: s_lshl_b64 s[12:13], s[2:3], s2         ; encoding: [0x02,0x02,0x8c,0x8f]

s_lshl_b64 tba, s[2:3], s2
// CHECK: s_lshl_b64 tba, s[2:3], s2              ; encoding: [0x02,0x02,0xec,0x8f]

s_lshl_b64 tma, s[2:3], s2
// CHECK: s_lshl_b64 tma, s[2:3], s2              ; encoding: [0x02,0x02,0xee,0x8f]

s_lshl_b64 ttmp[10:11], s[2:3], s2
// CHECK: s_lshl_b64 ttmp[10:11], s[2:3], s2      ; encoding: [0x02,0x02,0xfa,0x8f]

s_lshl_b64 vcc, s[2:3], s2
// CHECK: s_lshl_b64 vcc, s[2:3], s2              ; encoding: [0x02,0x02,0xea,0x8f]

s_lshr_b32 exec_hi, s1, s2
// CHECK: s_lshr_b32 exec_hi, s1, s2              ; encoding: [0x01,0x02,0x7f,0x90]

s_lshr_b32 exec_lo, s1, s2
// CHECK: s_lshr_b32 exec_lo, s1, s2              ; encoding: [0x01,0x02,0x7e,0x90]

s_lshr_b32 flat_scratch_hi, s1, s2
// CHECK: s_lshr_b32 flat_scratch_hi, s1, s2      ; encoding: [0x01,0x02,0x69,0x90]

s_lshr_b32 flat_scratch_lo, s1, s2
// CHECK: s_lshr_b32 flat_scratch_lo, s1, s2      ; encoding: [0x01,0x02,0x68,0x90]

s_lshr_b32 m0, s1, s2
// CHECK: s_lshr_b32 m0, s1, s2                   ; encoding: [0x01,0x02,0x7c,0x90]

s_lshr_b32 s103, s1, s2
// CHECK: s_lshr_b32 s103, s1, s2                 ; encoding: [0x01,0x02,0x67,0x90]

s_lshr_b32 s5, -1, s2
// CHECK: s_lshr_b32 s5, -1, s2                   ; encoding: [0xc1,0x02,0x05,0x90]

s_lshr_b32 s5, -4.0, s2
// CHECK: s_lshr_b32 s5, -4.0, s2                 ; encoding: [0xf7,0x02,0x05,0x90]

s_lshr_b32 s5, 0, s2
// CHECK: s_lshr_b32 s5, 0, s2                    ; encoding: [0x80,0x02,0x05,0x90]

s_lshr_b32 s5, 0.5, s2
// CHECK: s_lshr_b32 s5, 0.5, s2                  ; encoding: [0xf0,0x02,0x05,0x90]

s_lshr_b32 s5, 0x3f717273, s2
// CHECK: s_lshr_b32 s5, 0x3f717273, s2           ; encoding: [0xff,0x02,0x05,0x90,0x73,0x72,0x71,0x3f]

s_lshr_b32 s5, 0xaf123456, s2
// CHECK: s_lshr_b32 s5, 0xaf123456, s2           ; encoding: [0xff,0x02,0x05,0x90,0x56,0x34,0x12,0xaf]

s_lshr_b32 s5, exec_hi, s2
// CHECK: s_lshr_b32 s5, exec_hi, s2              ; encoding: [0x7f,0x02,0x05,0x90]

s_lshr_b32 s5, exec_lo, s2
// CHECK: s_lshr_b32 s5, exec_lo, s2              ; encoding: [0x7e,0x02,0x05,0x90]

s_lshr_b32 s5, flat_scratch_hi, s2
// CHECK: s_lshr_b32 s5, flat_scratch_hi, s2      ; encoding: [0x69,0x02,0x05,0x90]

s_lshr_b32 s5, flat_scratch_lo, s2
// CHECK: s_lshr_b32 s5, flat_scratch_lo, s2      ; encoding: [0x68,0x02,0x05,0x90]

s_lshr_b32 s5, m0, s2
// CHECK: s_lshr_b32 s5, m0, s2                   ; encoding: [0x7c,0x02,0x05,0x90]

s_lshr_b32 s5, s1, -1
// CHECK: s_lshr_b32 s5, s1, -1                   ; encoding: [0x01,0xc1,0x05,0x90]

s_lshr_b32 s5, s1, -4.0
// CHECK: s_lshr_b32 s5, s1, -4.0                 ; encoding: [0x01,0xf7,0x05,0x90]

s_lshr_b32 s5, s1, 0
// CHECK: s_lshr_b32 s5, s1, 0                    ; encoding: [0x01,0x80,0x05,0x90]

s_lshr_b32 s5, s1, 0.5
// CHECK: s_lshr_b32 s5, s1, 0.5                  ; encoding: [0x01,0xf0,0x05,0x90]

s_lshr_b32 s5, s1, 0x3f717273
// CHECK: s_lshr_b32 s5, s1, 0x3f717273           ; encoding: [0x01,0xff,0x05,0x90,0x73,0x72,0x71,0x3f]

s_lshr_b32 s5, s1, 0xaf123456
// CHECK: s_lshr_b32 s5, s1, 0xaf123456           ; encoding: [0x01,0xff,0x05,0x90,0x56,0x34,0x12,0xaf]

s_lshr_b32 s5, s1, exec_hi
// CHECK: s_lshr_b32 s5, s1, exec_hi              ; encoding: [0x01,0x7f,0x05,0x90]

s_lshr_b32 s5, s1, exec_lo
// CHECK: s_lshr_b32 s5, s1, exec_lo              ; encoding: [0x01,0x7e,0x05,0x90]

s_lshr_b32 s5, s1, flat_scratch_hi
// CHECK: s_lshr_b32 s5, s1, flat_scratch_hi      ; encoding: [0x01,0x69,0x05,0x90]

s_lshr_b32 s5, s1, flat_scratch_lo
// CHECK: s_lshr_b32 s5, s1, flat_scratch_lo      ; encoding: [0x01,0x68,0x05,0x90]

s_lshr_b32 s5, s1, m0
// CHECK: s_lshr_b32 s5, s1, m0                   ; encoding: [0x01,0x7c,0x05,0x90]

s_lshr_b32 s5, s1, s103
// CHECK: s_lshr_b32 s5, s1, s103                 ; encoding: [0x01,0x67,0x05,0x90]

s_lshr_b32 s5, s1, s2
// CHECK: s_lshr_b32 s5, s1, s2                   ; encoding: [0x01,0x02,0x05,0x90]

s_lshr_b32 s5, s1, src_execz
// CHECK: s_lshr_b32 s5, s1, src_execz            ; encoding: [0x01,0xfc,0x05,0x90]

s_lshr_b32 s5, s1, src_scc
// CHECK: s_lshr_b32 s5, s1, src_scc              ; encoding: [0x01,0xfd,0x05,0x90]

s_lshr_b32 s5, s1, src_vccz
// CHECK: s_lshr_b32 s5, s1, src_vccz             ; encoding: [0x01,0xfb,0x05,0x90]

s_lshr_b32 s5, s1, tba_hi
// CHECK: s_lshr_b32 s5, s1, tba_hi               ; encoding: [0x01,0x6d,0x05,0x90]

s_lshr_b32 s5, s1, tba_lo
// CHECK: s_lshr_b32 s5, s1, tba_lo               ; encoding: [0x01,0x6c,0x05,0x90]

s_lshr_b32 s5, s1, tma_hi
// CHECK: s_lshr_b32 s5, s1, tma_hi               ; encoding: [0x01,0x6f,0x05,0x90]

s_lshr_b32 s5, s1, tma_lo
// CHECK: s_lshr_b32 s5, s1, tma_lo               ; encoding: [0x01,0x6e,0x05,0x90]

s_lshr_b32 s5, s1, ttmp11
// CHECK: s_lshr_b32 s5, s1, ttmp11               ; encoding: [0x01,0x7b,0x05,0x90]

s_lshr_b32 s5, s1, vcc_hi
// CHECK: s_lshr_b32 s5, s1, vcc_hi               ; encoding: [0x01,0x6b,0x05,0x90]

s_lshr_b32 s5, s1, vcc_lo
// CHECK: s_lshr_b32 s5, s1, vcc_lo               ; encoding: [0x01,0x6a,0x05,0x90]

s_lshr_b32 s5, s103, s2
// CHECK: s_lshr_b32 s5, s103, s2                 ; encoding: [0x67,0x02,0x05,0x90]

s_lshr_b32 s5, src_execz, s2
// CHECK: s_lshr_b32 s5, src_execz, s2            ; encoding: [0xfc,0x02,0x05,0x90]

s_lshr_b32 s5, src_scc, s2
// CHECK: s_lshr_b32 s5, src_scc, s2              ; encoding: [0xfd,0x02,0x05,0x90]

s_lshr_b32 s5, src_vccz, s2
// CHECK: s_lshr_b32 s5, src_vccz, s2             ; encoding: [0xfb,0x02,0x05,0x90]

s_lshr_b32 s5, tba_hi, s2
// CHECK: s_lshr_b32 s5, tba_hi, s2               ; encoding: [0x6d,0x02,0x05,0x90]

s_lshr_b32 s5, tba_lo, s2
// CHECK: s_lshr_b32 s5, tba_lo, s2               ; encoding: [0x6c,0x02,0x05,0x90]

s_lshr_b32 s5, tma_hi, s2
// CHECK: s_lshr_b32 s5, tma_hi, s2               ; encoding: [0x6f,0x02,0x05,0x90]

s_lshr_b32 s5, tma_lo, s2
// CHECK: s_lshr_b32 s5, tma_lo, s2               ; encoding: [0x6e,0x02,0x05,0x90]

s_lshr_b32 s5, ttmp11, s2
// CHECK: s_lshr_b32 s5, ttmp11, s2               ; encoding: [0x7b,0x02,0x05,0x90]

s_lshr_b32 s5, vcc_hi, s2
// CHECK: s_lshr_b32 s5, vcc_hi, s2               ; encoding: [0x6b,0x02,0x05,0x90]

s_lshr_b32 s5, vcc_lo, s2
// CHECK: s_lshr_b32 s5, vcc_lo, s2               ; encoding: [0x6a,0x02,0x05,0x90]

s_lshr_b32 tba_hi, s1, s2
// CHECK: s_lshr_b32 tba_hi, s1, s2               ; encoding: [0x01,0x02,0x6d,0x90]

s_lshr_b32 tba_lo, s1, s2
// CHECK: s_lshr_b32 tba_lo, s1, s2               ; encoding: [0x01,0x02,0x6c,0x90]

s_lshr_b32 tma_hi, s1, s2
// CHECK: s_lshr_b32 tma_hi, s1, s2               ; encoding: [0x01,0x02,0x6f,0x90]

s_lshr_b32 tma_lo, s1, s2
// CHECK: s_lshr_b32 tma_lo, s1, s2               ; encoding: [0x01,0x02,0x6e,0x90]

s_lshr_b32 ttmp11, s1, s2
// CHECK: s_lshr_b32 ttmp11, s1, s2               ; encoding: [0x01,0x02,0x7b,0x90]

s_lshr_b32 vcc_hi, s1, s2
// CHECK: s_lshr_b32 vcc_hi, s1, s2               ; encoding: [0x01,0x02,0x6b,0x90]

s_lshr_b32 vcc_lo, s1, s2
// CHECK: s_lshr_b32 vcc_lo, s1, s2               ; encoding: [0x01,0x02,0x6a,0x90]

s_lshr_b64 exec, s[2:3], s2
// CHECK: s_lshr_b64 exec, s[2:3], s2             ; encoding: [0x02,0x02,0xfe,0x90]

s_lshr_b64 flat_scratch, s[2:3], s2
// CHECK: s_lshr_b64 flat_scratch, s[2:3], s2     ; encoding: [0x02,0x02,0xe8,0x90]

s_lshr_b64 s[102:103], s[2:3], s2
// CHECK: s_lshr_b64 s[102:103], s[2:3], s2       ; encoding: [0x02,0x02,0xe6,0x90]

s_lshr_b64 s[10:11], -1, s2
// CHECK: s_lshr_b64 s[10:11], -1, s2             ; encoding: [0xc1,0x02,0x8a,0x90]

s_lshr_b64 s[10:11], -4.0, s2
// CHECK: s_lshr_b64 s[10:11], -4.0, s2           ; encoding: [0xf7,0x02,0x8a,0x90]

s_lshr_b64 s[10:11], 0, s2
// CHECK: s_lshr_b64 s[10:11], 0, s2              ; encoding: [0x80,0x02,0x8a,0x90]

s_lshr_b64 s[10:11], 0.5, s2
// CHECK: s_lshr_b64 s[10:11], 0.5, s2            ; encoding: [0xf0,0x02,0x8a,0x90]

s_lshr_b64 s[10:11], 0x3f717273, s2
// CHECK: s_lshr_b64 s[10:11], 0x3f717273, s2     ; encoding: [0xff,0x02,0x8a,0x90,0x73,0x72,0x71,0x3f]

s_lshr_b64 s[10:11], 0xaf123456, s2
// CHECK: s_lshr_b64 s[10:11], 0xaf123456, s2     ; encoding: [0xff,0x02,0x8a,0x90,0x56,0x34,0x12,0xaf]

s_lshr_b64 s[10:11], exec, s2
// CHECK: s_lshr_b64 s[10:11], exec, s2           ; encoding: [0x7e,0x02,0x8a,0x90]

s_lshr_b64 s[10:11], flat_scratch, s2
// CHECK: s_lshr_b64 s[10:11], flat_scratch, s2   ; encoding: [0x68,0x02,0x8a,0x90]

s_lshr_b64 s[10:11], s[102:103], s2
// CHECK: s_lshr_b64 s[10:11], s[102:103], s2     ; encoding: [0x66,0x02,0x8a,0x90]

s_lshr_b64 s[10:11], s[2:3], -1
// CHECK: s_lshr_b64 s[10:11], s[2:3], -1         ; encoding: [0x02,0xc1,0x8a,0x90]

s_lshr_b64 s[10:11], s[2:3], -4.0
// CHECK: s_lshr_b64 s[10:11], s[2:3], -4.0       ; encoding: [0x02,0xf7,0x8a,0x90]

s_lshr_b64 s[10:11], s[2:3], 0
// CHECK: s_lshr_b64 s[10:11], s[2:3], 0          ; encoding: [0x02,0x80,0x8a,0x90]

s_lshr_b64 s[10:11], s[2:3], 0.5
// CHECK: s_lshr_b64 s[10:11], s[2:3], 0.5        ; encoding: [0x02,0xf0,0x8a,0x90]

s_lshr_b64 s[10:11], s[2:3], 0x3f717273
// CHECK: s_lshr_b64 s[10:11], s[2:3], 0x3f717273 ; encoding: [0x02,0xff,0x8a,0x90,0x73,0x72,0x71,0x3f]

s_lshr_b64 s[10:11], s[2:3], 0xaf123456
// CHECK: s_lshr_b64 s[10:11], s[2:3], 0xaf123456 ; encoding: [0x02,0xff,0x8a,0x90,0x56,0x34,0x12,0xaf]

s_lshr_b64 s[10:11], s[2:3], exec_hi
// CHECK: s_lshr_b64 s[10:11], s[2:3], exec_hi    ; encoding: [0x02,0x7f,0x8a,0x90]

s_lshr_b64 s[10:11], s[2:3], exec_lo
// CHECK: s_lshr_b64 s[10:11], s[2:3], exec_lo    ; encoding: [0x02,0x7e,0x8a,0x90]

s_lshr_b64 s[10:11], s[2:3], flat_scratch_hi
// CHECK: s_lshr_b64 s[10:11], s[2:3], flat_scratch_hi ; encoding: [0x02,0x69,0x8a,0x90]

s_lshr_b64 s[10:11], s[2:3], flat_scratch_lo
// CHECK: s_lshr_b64 s[10:11], s[2:3], flat_scratch_lo ; encoding: [0x02,0x68,0x8a,0x90]

s_lshr_b64 s[10:11], s[2:3], m0
// CHECK: s_lshr_b64 s[10:11], s[2:3], m0         ; encoding: [0x02,0x7c,0x8a,0x90]

s_lshr_b64 s[10:11], s[2:3], s103
// CHECK: s_lshr_b64 s[10:11], s[2:3], s103       ; encoding: [0x02,0x67,0x8a,0x90]

s_lshr_b64 s[10:11], s[2:3], s2
// CHECK: s_lshr_b64 s[10:11], s[2:3], s2         ; encoding: [0x02,0x02,0x8a,0x90]

s_lshr_b64 s[10:11], s[2:3], src_execz
// CHECK: s_lshr_b64 s[10:11], s[2:3], src_execz  ; encoding: [0x02,0xfc,0x8a,0x90]

s_lshr_b64 s[10:11], s[2:3], src_scc
// CHECK: s_lshr_b64 s[10:11], s[2:3], src_scc    ; encoding: [0x02,0xfd,0x8a,0x90]

s_lshr_b64 s[10:11], s[2:3], src_vccz
// CHECK: s_lshr_b64 s[10:11], s[2:3], src_vccz   ; encoding: [0x02,0xfb,0x8a,0x90]

s_lshr_b64 s[10:11], s[2:3], tba_hi
// CHECK: s_lshr_b64 s[10:11], s[2:3], tba_hi     ; encoding: [0x02,0x6d,0x8a,0x90]

s_lshr_b64 s[10:11], s[2:3], tba_lo
// CHECK: s_lshr_b64 s[10:11], s[2:3], tba_lo     ; encoding: [0x02,0x6c,0x8a,0x90]

s_lshr_b64 s[10:11], s[2:3], tma_hi
// CHECK: s_lshr_b64 s[10:11], s[2:3], tma_hi     ; encoding: [0x02,0x6f,0x8a,0x90]

s_lshr_b64 s[10:11], s[2:3], tma_lo
// CHECK: s_lshr_b64 s[10:11], s[2:3], tma_lo     ; encoding: [0x02,0x6e,0x8a,0x90]

s_lshr_b64 s[10:11], s[2:3], ttmp11
// CHECK: s_lshr_b64 s[10:11], s[2:3], ttmp11     ; encoding: [0x02,0x7b,0x8a,0x90]

s_lshr_b64 s[10:11], s[2:3], vcc_hi
// CHECK: s_lshr_b64 s[10:11], s[2:3], vcc_hi     ; encoding: [0x02,0x6b,0x8a,0x90]

s_lshr_b64 s[10:11], s[2:3], vcc_lo
// CHECK: s_lshr_b64 s[10:11], s[2:3], vcc_lo     ; encoding: [0x02,0x6a,0x8a,0x90]

s_lshr_b64 s[10:11], s[4:5], s2
// CHECK: s_lshr_b64 s[10:11], s[4:5], s2         ; encoding: [0x04,0x02,0x8a,0x90]

s_lshr_b64 s[10:11], src_execz, s2
// CHECK: s_lshr_b64 s[10:11], src_execz, s2      ; encoding: [0xfc,0x02,0x8a,0x90]

s_lshr_b64 s[10:11], src_scc, s2
// CHECK: s_lshr_b64 s[10:11], src_scc, s2        ; encoding: [0xfd,0x02,0x8a,0x90]

s_lshr_b64 s[10:11], src_vccz, s2
// CHECK: s_lshr_b64 s[10:11], src_vccz, s2       ; encoding: [0xfb,0x02,0x8a,0x90]

s_lshr_b64 s[10:11], tba, s2
// CHECK: s_lshr_b64 s[10:11], tba, s2            ; encoding: [0x6c,0x02,0x8a,0x90]

s_lshr_b64 s[10:11], tma, s2
// CHECK: s_lshr_b64 s[10:11], tma, s2            ; encoding: [0x6e,0x02,0x8a,0x90]

s_lshr_b64 s[10:11], ttmp[10:11], s2
// CHECK: s_lshr_b64 s[10:11], ttmp[10:11], s2    ; encoding: [0x7a,0x02,0x8a,0x90]

s_lshr_b64 s[10:11], vcc, s2
// CHECK: s_lshr_b64 s[10:11], vcc, s2            ; encoding: [0x6a,0x02,0x8a,0x90]

s_lshr_b64 s[12:13], s[2:3], s2
// CHECK: s_lshr_b64 s[12:13], s[2:3], s2         ; encoding: [0x02,0x02,0x8c,0x90]

s_lshr_b64 tba, s[2:3], s2
// CHECK: s_lshr_b64 tba, s[2:3], s2              ; encoding: [0x02,0x02,0xec,0x90]

s_lshr_b64 tma, s[2:3], s2
// CHECK: s_lshr_b64 tma, s[2:3], s2              ; encoding: [0x02,0x02,0xee,0x90]

s_lshr_b64 ttmp[10:11], s[2:3], s2
// CHECK: s_lshr_b64 ttmp[10:11], s[2:3], s2      ; encoding: [0x02,0x02,0xfa,0x90]

s_lshr_b64 vcc, s[2:3], s2
// CHECK: s_lshr_b64 vcc, s[2:3], s2              ; encoding: [0x02,0x02,0xea,0x90]

s_max_i32 exec_hi, s1, s2
// CHECK: s_max_i32 exec_hi, s1, s2               ; encoding: [0x01,0x02,0x7f,0x84]

s_max_i32 exec_lo, s1, s2
// CHECK: s_max_i32 exec_lo, s1, s2               ; encoding: [0x01,0x02,0x7e,0x84]

s_max_i32 flat_scratch_hi, s1, s2
// CHECK: s_max_i32 flat_scratch_hi, s1, s2       ; encoding: [0x01,0x02,0x69,0x84]

s_max_i32 flat_scratch_lo, s1, s2
// CHECK: s_max_i32 flat_scratch_lo, s1, s2       ; encoding: [0x01,0x02,0x68,0x84]

s_max_i32 m0, s1, s2
// CHECK: s_max_i32 m0, s1, s2                    ; encoding: [0x01,0x02,0x7c,0x84]

s_max_i32 s103, s1, s2
// CHECK: s_max_i32 s103, s1, s2                  ; encoding: [0x01,0x02,0x67,0x84]

s_max_i32 s5, -1, s2
// CHECK: s_max_i32 s5, -1, s2                    ; encoding: [0xc1,0x02,0x05,0x84]

s_max_i32 s5, -4.0, s2
// CHECK: s_max_i32 s5, -4.0, s2                  ; encoding: [0xf7,0x02,0x05,0x84]

s_max_i32 s5, 0, s2
// CHECK: s_max_i32 s5, 0, s2                     ; encoding: [0x80,0x02,0x05,0x84]

s_max_i32 s5, 0.5, s2
// CHECK: s_max_i32 s5, 0.5, s2                   ; encoding: [0xf0,0x02,0x05,0x84]

s_max_i32 s5, 0x3f717273, s2
// CHECK: s_max_i32 s5, 0x3f717273, s2            ; encoding: [0xff,0x02,0x05,0x84,0x73,0x72,0x71,0x3f]

s_max_i32 s5, 0xaf123456, s2
// CHECK: s_max_i32 s5, 0xaf123456, s2            ; encoding: [0xff,0x02,0x05,0x84,0x56,0x34,0x12,0xaf]

s_max_i32 s5, exec_hi, s2
// CHECK: s_max_i32 s5, exec_hi, s2               ; encoding: [0x7f,0x02,0x05,0x84]

s_max_i32 s5, exec_lo, s2
// CHECK: s_max_i32 s5, exec_lo, s2               ; encoding: [0x7e,0x02,0x05,0x84]

s_max_i32 s5, flat_scratch_hi, s2
// CHECK: s_max_i32 s5, flat_scratch_hi, s2       ; encoding: [0x69,0x02,0x05,0x84]

s_max_i32 s5, flat_scratch_lo, s2
// CHECK: s_max_i32 s5, flat_scratch_lo, s2       ; encoding: [0x68,0x02,0x05,0x84]

s_max_i32 s5, m0, s2
// CHECK: s_max_i32 s5, m0, s2                    ; encoding: [0x7c,0x02,0x05,0x84]

s_max_i32 s5, s1, -1
// CHECK: s_max_i32 s5, s1, -1                    ; encoding: [0x01,0xc1,0x05,0x84]

s_max_i32 s5, s1, -4.0
// CHECK: s_max_i32 s5, s1, -4.0                  ; encoding: [0x01,0xf7,0x05,0x84]

s_max_i32 s5, s1, 0
// CHECK: s_max_i32 s5, s1, 0                     ; encoding: [0x01,0x80,0x05,0x84]

s_max_i32 s5, s1, 0.5
// CHECK: s_max_i32 s5, s1, 0.5                   ; encoding: [0x01,0xf0,0x05,0x84]

s_max_i32 s5, s1, 0x3f717273
// CHECK: s_max_i32 s5, s1, 0x3f717273            ; encoding: [0x01,0xff,0x05,0x84,0x73,0x72,0x71,0x3f]

s_max_i32 s5, s1, 0xaf123456
// CHECK: s_max_i32 s5, s1, 0xaf123456            ; encoding: [0x01,0xff,0x05,0x84,0x56,0x34,0x12,0xaf]

s_max_i32 s5, s1, exec_hi
// CHECK: s_max_i32 s5, s1, exec_hi               ; encoding: [0x01,0x7f,0x05,0x84]

s_max_i32 s5, s1, exec_lo
// CHECK: s_max_i32 s5, s1, exec_lo               ; encoding: [0x01,0x7e,0x05,0x84]

s_max_i32 s5, s1, flat_scratch_hi
// CHECK: s_max_i32 s5, s1, flat_scratch_hi       ; encoding: [0x01,0x69,0x05,0x84]

s_max_i32 s5, s1, flat_scratch_lo
// CHECK: s_max_i32 s5, s1, flat_scratch_lo       ; encoding: [0x01,0x68,0x05,0x84]

s_max_i32 s5, s1, m0
// CHECK: s_max_i32 s5, s1, m0                    ; encoding: [0x01,0x7c,0x05,0x84]

s_max_i32 s5, s1, s103
// CHECK: s_max_i32 s5, s1, s103                  ; encoding: [0x01,0x67,0x05,0x84]

s_max_i32 s5, s1, s2
// CHECK: s_max_i32 s5, s1, s2                    ; encoding: [0x01,0x02,0x05,0x84]

s_max_i32 s5, s1, src_execz
// CHECK: s_max_i32 s5, s1, src_execz             ; encoding: [0x01,0xfc,0x05,0x84]

s_max_i32 s5, s1, src_scc
// CHECK: s_max_i32 s5, s1, src_scc               ; encoding: [0x01,0xfd,0x05,0x84]

s_max_i32 s5, s1, src_vccz
// CHECK: s_max_i32 s5, s1, src_vccz              ; encoding: [0x01,0xfb,0x05,0x84]

s_max_i32 s5, s1, tba_hi
// CHECK: s_max_i32 s5, s1, tba_hi                ; encoding: [0x01,0x6d,0x05,0x84]

s_max_i32 s5, s1, tba_lo
// CHECK: s_max_i32 s5, s1, tba_lo                ; encoding: [0x01,0x6c,0x05,0x84]

s_max_i32 s5, s1, tma_hi
// CHECK: s_max_i32 s5, s1, tma_hi                ; encoding: [0x01,0x6f,0x05,0x84]

s_max_i32 s5, s1, tma_lo
// CHECK: s_max_i32 s5, s1, tma_lo                ; encoding: [0x01,0x6e,0x05,0x84]

s_max_i32 s5, s1, ttmp11
// CHECK: s_max_i32 s5, s1, ttmp11                ; encoding: [0x01,0x7b,0x05,0x84]

s_max_i32 s5, s1, vcc_hi
// CHECK: s_max_i32 s5, s1, vcc_hi                ; encoding: [0x01,0x6b,0x05,0x84]

s_max_i32 s5, s1, vcc_lo
// CHECK: s_max_i32 s5, s1, vcc_lo                ; encoding: [0x01,0x6a,0x05,0x84]

s_max_i32 s5, s103, s2
// CHECK: s_max_i32 s5, s103, s2                  ; encoding: [0x67,0x02,0x05,0x84]

s_max_i32 s5, src_execz, s2
// CHECK: s_max_i32 s5, src_execz, s2             ; encoding: [0xfc,0x02,0x05,0x84]

s_max_i32 s5, src_scc, s2
// CHECK: s_max_i32 s5, src_scc, s2               ; encoding: [0xfd,0x02,0x05,0x84]

s_max_i32 s5, src_vccz, s2
// CHECK: s_max_i32 s5, src_vccz, s2              ; encoding: [0xfb,0x02,0x05,0x84]

s_max_i32 s5, tba_hi, s2
// CHECK: s_max_i32 s5, tba_hi, s2                ; encoding: [0x6d,0x02,0x05,0x84]

s_max_i32 s5, tba_lo, s2
// CHECK: s_max_i32 s5, tba_lo, s2                ; encoding: [0x6c,0x02,0x05,0x84]

s_max_i32 s5, tma_hi, s2
// CHECK: s_max_i32 s5, tma_hi, s2                ; encoding: [0x6f,0x02,0x05,0x84]

s_max_i32 s5, tma_lo, s2
// CHECK: s_max_i32 s5, tma_lo, s2                ; encoding: [0x6e,0x02,0x05,0x84]

s_max_i32 s5, ttmp11, s2
// CHECK: s_max_i32 s5, ttmp11, s2                ; encoding: [0x7b,0x02,0x05,0x84]

s_max_i32 s5, vcc_hi, s2
// CHECK: s_max_i32 s5, vcc_hi, s2                ; encoding: [0x6b,0x02,0x05,0x84]

s_max_i32 s5, vcc_lo, s2
// CHECK: s_max_i32 s5, vcc_lo, s2                ; encoding: [0x6a,0x02,0x05,0x84]

s_max_i32 tba_hi, s1, s2
// CHECK: s_max_i32 tba_hi, s1, s2                ; encoding: [0x01,0x02,0x6d,0x84]

s_max_i32 tba_lo, s1, s2
// CHECK: s_max_i32 tba_lo, s1, s2                ; encoding: [0x01,0x02,0x6c,0x84]

s_max_i32 tma_hi, s1, s2
// CHECK: s_max_i32 tma_hi, s1, s2                ; encoding: [0x01,0x02,0x6f,0x84]

s_max_i32 tma_lo, s1, s2
// CHECK: s_max_i32 tma_lo, s1, s2                ; encoding: [0x01,0x02,0x6e,0x84]

s_max_i32 ttmp11, s1, s2
// CHECK: s_max_i32 ttmp11, s1, s2                ; encoding: [0x01,0x02,0x7b,0x84]

s_max_i32 vcc_hi, s1, s2
// CHECK: s_max_i32 vcc_hi, s1, s2                ; encoding: [0x01,0x02,0x6b,0x84]

s_max_i32 vcc_lo, s1, s2
// CHECK: s_max_i32 vcc_lo, s1, s2                ; encoding: [0x01,0x02,0x6a,0x84]

s_max_u32 exec_hi, s1, s2
// CHECK: s_max_u32 exec_hi, s1, s2               ; encoding: [0x01,0x02,0xff,0x84]

s_max_u32 exec_lo, s1, s2
// CHECK: s_max_u32 exec_lo, s1, s2               ; encoding: [0x01,0x02,0xfe,0x84]

s_max_u32 flat_scratch_hi, s1, s2
// CHECK: s_max_u32 flat_scratch_hi, s1, s2       ; encoding: [0x01,0x02,0xe9,0x84]

s_max_u32 flat_scratch_lo, s1, s2
// CHECK: s_max_u32 flat_scratch_lo, s1, s2       ; encoding: [0x01,0x02,0xe8,0x84]

s_max_u32 m0, s1, s2
// CHECK: s_max_u32 m0, s1, s2                    ; encoding: [0x01,0x02,0xfc,0x84]

s_max_u32 s103, s1, s2
// CHECK: s_max_u32 s103, s1, s2                  ; encoding: [0x01,0x02,0xe7,0x84]

s_max_u32 s5, -1, s2
// CHECK: s_max_u32 s5, -1, s2                    ; encoding: [0xc1,0x02,0x85,0x84]

s_max_u32 s5, -4.0, s2
// CHECK: s_max_u32 s5, -4.0, s2                  ; encoding: [0xf7,0x02,0x85,0x84]

s_max_u32 s5, 0, s2
// CHECK: s_max_u32 s5, 0, s2                     ; encoding: [0x80,0x02,0x85,0x84]

s_max_u32 s5, 0.5, s2
// CHECK: s_max_u32 s5, 0.5, s2                   ; encoding: [0xf0,0x02,0x85,0x84]

s_max_u32 s5, 0x3f717273, s2
// CHECK: s_max_u32 s5, 0x3f717273, s2            ; encoding: [0xff,0x02,0x85,0x84,0x73,0x72,0x71,0x3f]

s_max_u32 s5, 0xaf123456, s2
// CHECK: s_max_u32 s5, 0xaf123456, s2            ; encoding: [0xff,0x02,0x85,0x84,0x56,0x34,0x12,0xaf]

s_max_u32 s5, exec_hi, s2
// CHECK: s_max_u32 s5, exec_hi, s2               ; encoding: [0x7f,0x02,0x85,0x84]

s_max_u32 s5, exec_lo, s2
// CHECK: s_max_u32 s5, exec_lo, s2               ; encoding: [0x7e,0x02,0x85,0x84]

s_max_u32 s5, flat_scratch_hi, s2
// CHECK: s_max_u32 s5, flat_scratch_hi, s2       ; encoding: [0x69,0x02,0x85,0x84]

s_max_u32 s5, flat_scratch_lo, s2
// CHECK: s_max_u32 s5, flat_scratch_lo, s2       ; encoding: [0x68,0x02,0x85,0x84]

s_max_u32 s5, m0, s2
// CHECK: s_max_u32 s5, m0, s2                    ; encoding: [0x7c,0x02,0x85,0x84]

s_max_u32 s5, s1, -1
// CHECK: s_max_u32 s5, s1, -1                    ; encoding: [0x01,0xc1,0x85,0x84]

s_max_u32 s5, s1, -4.0
// CHECK: s_max_u32 s5, s1, -4.0                  ; encoding: [0x01,0xf7,0x85,0x84]

s_max_u32 s5, s1, 0
// CHECK: s_max_u32 s5, s1, 0                     ; encoding: [0x01,0x80,0x85,0x84]

s_max_u32 s5, s1, 0.5
// CHECK: s_max_u32 s5, s1, 0.5                   ; encoding: [0x01,0xf0,0x85,0x84]

s_max_u32 s5, s1, 0x3f717273
// CHECK: s_max_u32 s5, s1, 0x3f717273            ; encoding: [0x01,0xff,0x85,0x84,0x73,0x72,0x71,0x3f]

s_max_u32 s5, s1, 0xaf123456
// CHECK: s_max_u32 s5, s1, 0xaf123456            ; encoding: [0x01,0xff,0x85,0x84,0x56,0x34,0x12,0xaf]

s_max_u32 s5, s1, exec_hi
// CHECK: s_max_u32 s5, s1, exec_hi               ; encoding: [0x01,0x7f,0x85,0x84]

s_max_u32 s5, s1, exec_lo
// CHECK: s_max_u32 s5, s1, exec_lo               ; encoding: [0x01,0x7e,0x85,0x84]

s_max_u32 s5, s1, flat_scratch_hi
// CHECK: s_max_u32 s5, s1, flat_scratch_hi       ; encoding: [0x01,0x69,0x85,0x84]

s_max_u32 s5, s1, flat_scratch_lo
// CHECK: s_max_u32 s5, s1, flat_scratch_lo       ; encoding: [0x01,0x68,0x85,0x84]

s_max_u32 s5, s1, m0
// CHECK: s_max_u32 s5, s1, m0                    ; encoding: [0x01,0x7c,0x85,0x84]

s_max_u32 s5, s1, s103
// CHECK: s_max_u32 s5, s1, s103                  ; encoding: [0x01,0x67,0x85,0x84]

s_max_u32 s5, s1, s2
// CHECK: s_max_u32 s5, s1, s2                    ; encoding: [0x01,0x02,0x85,0x84]

s_max_u32 s5, s1, src_execz
// CHECK: s_max_u32 s5, s1, src_execz             ; encoding: [0x01,0xfc,0x85,0x84]

s_max_u32 s5, s1, src_scc
// CHECK: s_max_u32 s5, s1, src_scc               ; encoding: [0x01,0xfd,0x85,0x84]

s_max_u32 s5, s1, src_vccz
// CHECK: s_max_u32 s5, s1, src_vccz              ; encoding: [0x01,0xfb,0x85,0x84]

s_max_u32 s5, s1, tba_hi
// CHECK: s_max_u32 s5, s1, tba_hi                ; encoding: [0x01,0x6d,0x85,0x84]

s_max_u32 s5, s1, tba_lo
// CHECK: s_max_u32 s5, s1, tba_lo                ; encoding: [0x01,0x6c,0x85,0x84]

s_max_u32 s5, s1, tma_hi
// CHECK: s_max_u32 s5, s1, tma_hi                ; encoding: [0x01,0x6f,0x85,0x84]

s_max_u32 s5, s1, tma_lo
// CHECK: s_max_u32 s5, s1, tma_lo                ; encoding: [0x01,0x6e,0x85,0x84]

s_max_u32 s5, s1, ttmp11
// CHECK: s_max_u32 s5, s1, ttmp11                ; encoding: [0x01,0x7b,0x85,0x84]

s_max_u32 s5, s1, vcc_hi
// CHECK: s_max_u32 s5, s1, vcc_hi                ; encoding: [0x01,0x6b,0x85,0x84]

s_max_u32 s5, s1, vcc_lo
// CHECK: s_max_u32 s5, s1, vcc_lo                ; encoding: [0x01,0x6a,0x85,0x84]

s_max_u32 s5, s103, s2
// CHECK: s_max_u32 s5, s103, s2                  ; encoding: [0x67,0x02,0x85,0x84]

s_max_u32 s5, src_execz, s2
// CHECK: s_max_u32 s5, src_execz, s2             ; encoding: [0xfc,0x02,0x85,0x84]

s_max_u32 s5, src_scc, s2
// CHECK: s_max_u32 s5, src_scc, s2               ; encoding: [0xfd,0x02,0x85,0x84]

s_max_u32 s5, src_vccz, s2
// CHECK: s_max_u32 s5, src_vccz, s2              ; encoding: [0xfb,0x02,0x85,0x84]

s_max_u32 s5, tba_hi, s2
// CHECK: s_max_u32 s5, tba_hi, s2                ; encoding: [0x6d,0x02,0x85,0x84]

s_max_u32 s5, tba_lo, s2
// CHECK: s_max_u32 s5, tba_lo, s2                ; encoding: [0x6c,0x02,0x85,0x84]

s_max_u32 s5, tma_hi, s2
// CHECK: s_max_u32 s5, tma_hi, s2                ; encoding: [0x6f,0x02,0x85,0x84]

s_max_u32 s5, tma_lo, s2
// CHECK: s_max_u32 s5, tma_lo, s2                ; encoding: [0x6e,0x02,0x85,0x84]

s_max_u32 s5, ttmp11, s2
// CHECK: s_max_u32 s5, ttmp11, s2                ; encoding: [0x7b,0x02,0x85,0x84]

s_max_u32 s5, vcc_hi, s2
// CHECK: s_max_u32 s5, vcc_hi, s2                ; encoding: [0x6b,0x02,0x85,0x84]

s_max_u32 s5, vcc_lo, s2
// CHECK: s_max_u32 s5, vcc_lo, s2                ; encoding: [0x6a,0x02,0x85,0x84]

s_max_u32 tba_hi, s1, s2
// CHECK: s_max_u32 tba_hi, s1, s2                ; encoding: [0x01,0x02,0xed,0x84]

s_max_u32 tba_lo, s1, s2
// CHECK: s_max_u32 tba_lo, s1, s2                ; encoding: [0x01,0x02,0xec,0x84]

s_max_u32 tma_hi, s1, s2
// CHECK: s_max_u32 tma_hi, s1, s2                ; encoding: [0x01,0x02,0xef,0x84]

s_max_u32 tma_lo, s1, s2
// CHECK: s_max_u32 tma_lo, s1, s2                ; encoding: [0x01,0x02,0xee,0x84]

s_max_u32 ttmp11, s1, s2
// CHECK: s_max_u32 ttmp11, s1, s2                ; encoding: [0x01,0x02,0xfb,0x84]

s_max_u32 vcc_hi, s1, s2
// CHECK: s_max_u32 vcc_hi, s1, s2                ; encoding: [0x01,0x02,0xeb,0x84]

s_max_u32 vcc_lo, s1, s2
// CHECK: s_max_u32 vcc_lo, s1, s2                ; encoding: [0x01,0x02,0xea,0x84]

s_min_i32 exec_hi, s1, s2
// CHECK: s_min_i32 exec_hi, s1, s2               ; encoding: [0x01,0x02,0x7f,0x83]

s_min_i32 exec_lo, s1, s2
// CHECK: s_min_i32 exec_lo, s1, s2               ; encoding: [0x01,0x02,0x7e,0x83]

s_min_i32 flat_scratch_hi, s1, s2
// CHECK: s_min_i32 flat_scratch_hi, s1, s2       ; encoding: [0x01,0x02,0x69,0x83]

s_min_i32 flat_scratch_lo, s1, s2
// CHECK: s_min_i32 flat_scratch_lo, s1, s2       ; encoding: [0x01,0x02,0x68,0x83]

s_min_i32 m0, s1, s2
// CHECK: s_min_i32 m0, s1, s2                    ; encoding: [0x01,0x02,0x7c,0x83]

s_min_i32 s103, s1, s2
// CHECK: s_min_i32 s103, s1, s2                  ; encoding: [0x01,0x02,0x67,0x83]

s_min_i32 s5, -1, s2
// CHECK: s_min_i32 s5, -1, s2                    ; encoding: [0xc1,0x02,0x05,0x83]

s_min_i32 s5, -4.0, s2
// CHECK: s_min_i32 s5, -4.0, s2                  ; encoding: [0xf7,0x02,0x05,0x83]

s_min_i32 s5, 0, s2
// CHECK: s_min_i32 s5, 0, s2                     ; encoding: [0x80,0x02,0x05,0x83]

s_min_i32 s5, 0.5, s2
// CHECK: s_min_i32 s5, 0.5, s2                   ; encoding: [0xf0,0x02,0x05,0x83]

s_min_i32 s5, 0x3f717273, s2
// CHECK: s_min_i32 s5, 0x3f717273, s2            ; encoding: [0xff,0x02,0x05,0x83,0x73,0x72,0x71,0x3f]

s_min_i32 s5, 0xaf123456, s2
// CHECK: s_min_i32 s5, 0xaf123456, s2            ; encoding: [0xff,0x02,0x05,0x83,0x56,0x34,0x12,0xaf]

s_min_i32 s5, exec_hi, s2
// CHECK: s_min_i32 s5, exec_hi, s2               ; encoding: [0x7f,0x02,0x05,0x83]

s_min_i32 s5, exec_lo, s2
// CHECK: s_min_i32 s5, exec_lo, s2               ; encoding: [0x7e,0x02,0x05,0x83]

s_min_i32 s5, flat_scratch_hi, s2
// CHECK: s_min_i32 s5, flat_scratch_hi, s2       ; encoding: [0x69,0x02,0x05,0x83]

s_min_i32 s5, flat_scratch_lo, s2
// CHECK: s_min_i32 s5, flat_scratch_lo, s2       ; encoding: [0x68,0x02,0x05,0x83]

s_min_i32 s5, m0, s2
// CHECK: s_min_i32 s5, m0, s2                    ; encoding: [0x7c,0x02,0x05,0x83]

s_min_i32 s5, s1, -1
// CHECK: s_min_i32 s5, s1, -1                    ; encoding: [0x01,0xc1,0x05,0x83]

s_min_i32 s5, s1, -4.0
// CHECK: s_min_i32 s5, s1, -4.0                  ; encoding: [0x01,0xf7,0x05,0x83]

s_min_i32 s5, s1, 0
// CHECK: s_min_i32 s5, s1, 0                     ; encoding: [0x01,0x80,0x05,0x83]

s_min_i32 s5, s1, 0.5
// CHECK: s_min_i32 s5, s1, 0.5                   ; encoding: [0x01,0xf0,0x05,0x83]

s_min_i32 s5, s1, 0x3f717273
// CHECK: s_min_i32 s5, s1, 0x3f717273            ; encoding: [0x01,0xff,0x05,0x83,0x73,0x72,0x71,0x3f]

s_min_i32 s5, s1, 0xaf123456
// CHECK: s_min_i32 s5, s1, 0xaf123456            ; encoding: [0x01,0xff,0x05,0x83,0x56,0x34,0x12,0xaf]

s_min_i32 s5, s1, exec_hi
// CHECK: s_min_i32 s5, s1, exec_hi               ; encoding: [0x01,0x7f,0x05,0x83]

s_min_i32 s5, s1, exec_lo
// CHECK: s_min_i32 s5, s1, exec_lo               ; encoding: [0x01,0x7e,0x05,0x83]

s_min_i32 s5, s1, flat_scratch_hi
// CHECK: s_min_i32 s5, s1, flat_scratch_hi       ; encoding: [0x01,0x69,0x05,0x83]

s_min_i32 s5, s1, flat_scratch_lo
// CHECK: s_min_i32 s5, s1, flat_scratch_lo       ; encoding: [0x01,0x68,0x05,0x83]

s_min_i32 s5, s1, m0
// CHECK: s_min_i32 s5, s1, m0                    ; encoding: [0x01,0x7c,0x05,0x83]

s_min_i32 s5, s1, s103
// CHECK: s_min_i32 s5, s1, s103                  ; encoding: [0x01,0x67,0x05,0x83]

s_min_i32 s5, s1, s2
// CHECK: s_min_i32 s5, s1, s2                    ; encoding: [0x01,0x02,0x05,0x83]

s_min_i32 s5, s1, src_execz
// CHECK: s_min_i32 s5, s1, src_execz             ; encoding: [0x01,0xfc,0x05,0x83]

s_min_i32 s5, s1, src_scc
// CHECK: s_min_i32 s5, s1, src_scc               ; encoding: [0x01,0xfd,0x05,0x83]

s_min_i32 s5, s1, src_vccz
// CHECK: s_min_i32 s5, s1, src_vccz              ; encoding: [0x01,0xfb,0x05,0x83]

s_min_i32 s5, s1, tba_hi
// CHECK: s_min_i32 s5, s1, tba_hi                ; encoding: [0x01,0x6d,0x05,0x83]

s_min_i32 s5, s1, tba_lo
// CHECK: s_min_i32 s5, s1, tba_lo                ; encoding: [0x01,0x6c,0x05,0x83]

s_min_i32 s5, s1, tma_hi
// CHECK: s_min_i32 s5, s1, tma_hi                ; encoding: [0x01,0x6f,0x05,0x83]

s_min_i32 s5, s1, tma_lo
// CHECK: s_min_i32 s5, s1, tma_lo                ; encoding: [0x01,0x6e,0x05,0x83]

s_min_i32 s5, s1, ttmp11
// CHECK: s_min_i32 s5, s1, ttmp11                ; encoding: [0x01,0x7b,0x05,0x83]

s_min_i32 s5, s1, vcc_hi
// CHECK: s_min_i32 s5, s1, vcc_hi                ; encoding: [0x01,0x6b,0x05,0x83]

s_min_i32 s5, s1, vcc_lo
// CHECK: s_min_i32 s5, s1, vcc_lo                ; encoding: [0x01,0x6a,0x05,0x83]

s_min_i32 s5, s103, s2
// CHECK: s_min_i32 s5, s103, s2                  ; encoding: [0x67,0x02,0x05,0x83]

s_min_i32 s5, src_execz, s2
// CHECK: s_min_i32 s5, src_execz, s2             ; encoding: [0xfc,0x02,0x05,0x83]

s_min_i32 s5, src_scc, s2
// CHECK: s_min_i32 s5, src_scc, s2               ; encoding: [0xfd,0x02,0x05,0x83]

s_min_i32 s5, src_vccz, s2
// CHECK: s_min_i32 s5, src_vccz, s2              ; encoding: [0xfb,0x02,0x05,0x83]

s_min_i32 s5, tba_hi, s2
// CHECK: s_min_i32 s5, tba_hi, s2                ; encoding: [0x6d,0x02,0x05,0x83]

s_min_i32 s5, tba_lo, s2
// CHECK: s_min_i32 s5, tba_lo, s2                ; encoding: [0x6c,0x02,0x05,0x83]

s_min_i32 s5, tma_hi, s2
// CHECK: s_min_i32 s5, tma_hi, s2                ; encoding: [0x6f,0x02,0x05,0x83]

s_min_i32 s5, tma_lo, s2
// CHECK: s_min_i32 s5, tma_lo, s2                ; encoding: [0x6e,0x02,0x05,0x83]

s_min_i32 s5, ttmp11, s2
// CHECK: s_min_i32 s5, ttmp11, s2                ; encoding: [0x7b,0x02,0x05,0x83]

s_min_i32 s5, vcc_hi, s2
// CHECK: s_min_i32 s5, vcc_hi, s2                ; encoding: [0x6b,0x02,0x05,0x83]

s_min_i32 s5, vcc_lo, s2
// CHECK: s_min_i32 s5, vcc_lo, s2                ; encoding: [0x6a,0x02,0x05,0x83]

s_min_i32 tba_hi, s1, s2
// CHECK: s_min_i32 tba_hi, s1, s2                ; encoding: [0x01,0x02,0x6d,0x83]

s_min_i32 tba_lo, s1, s2
// CHECK: s_min_i32 tba_lo, s1, s2                ; encoding: [0x01,0x02,0x6c,0x83]

s_min_i32 tma_hi, s1, s2
// CHECK: s_min_i32 tma_hi, s1, s2                ; encoding: [0x01,0x02,0x6f,0x83]

s_min_i32 tma_lo, s1, s2
// CHECK: s_min_i32 tma_lo, s1, s2                ; encoding: [0x01,0x02,0x6e,0x83]

s_min_i32 ttmp11, s1, s2
// CHECK: s_min_i32 ttmp11, s1, s2                ; encoding: [0x01,0x02,0x7b,0x83]

s_min_i32 vcc_hi, s1, s2
// CHECK: s_min_i32 vcc_hi, s1, s2                ; encoding: [0x01,0x02,0x6b,0x83]

s_min_i32 vcc_lo, s1, s2
// CHECK: s_min_i32 vcc_lo, s1, s2                ; encoding: [0x01,0x02,0x6a,0x83]

s_min_u32 exec_hi, s1, s2
// CHECK: s_min_u32 exec_hi, s1, s2               ; encoding: [0x01,0x02,0xff,0x83]

s_min_u32 exec_lo, s1, s2
// CHECK: s_min_u32 exec_lo, s1, s2               ; encoding: [0x01,0x02,0xfe,0x83]

s_min_u32 flat_scratch_hi, s1, s2
// CHECK: s_min_u32 flat_scratch_hi, s1, s2       ; encoding: [0x01,0x02,0xe9,0x83]

s_min_u32 flat_scratch_lo, s1, s2
// CHECK: s_min_u32 flat_scratch_lo, s1, s2       ; encoding: [0x01,0x02,0xe8,0x83]

s_min_u32 m0, s1, s2
// CHECK: s_min_u32 m0, s1, s2                    ; encoding: [0x01,0x02,0xfc,0x83]

s_min_u32 s103, s1, s2
// CHECK: s_min_u32 s103, s1, s2                  ; encoding: [0x01,0x02,0xe7,0x83]

s_min_u32 s5, -1, s2
// CHECK: s_min_u32 s5, -1, s2                    ; encoding: [0xc1,0x02,0x85,0x83]

s_min_u32 s5, -4.0, s2
// CHECK: s_min_u32 s5, -4.0, s2                  ; encoding: [0xf7,0x02,0x85,0x83]

s_min_u32 s5, 0, s2
// CHECK: s_min_u32 s5, 0, s2                     ; encoding: [0x80,0x02,0x85,0x83]

s_min_u32 s5, 0.5, s2
// CHECK: s_min_u32 s5, 0.5, s2                   ; encoding: [0xf0,0x02,0x85,0x83]

s_min_u32 s5, 0x3f717273, s2
// CHECK: s_min_u32 s5, 0x3f717273, s2            ; encoding: [0xff,0x02,0x85,0x83,0x73,0x72,0x71,0x3f]

s_min_u32 s5, 0xaf123456, s2
// CHECK: s_min_u32 s5, 0xaf123456, s2            ; encoding: [0xff,0x02,0x85,0x83,0x56,0x34,0x12,0xaf]

s_min_u32 s5, exec_hi, s2
// CHECK: s_min_u32 s5, exec_hi, s2               ; encoding: [0x7f,0x02,0x85,0x83]

s_min_u32 s5, exec_lo, s2
// CHECK: s_min_u32 s5, exec_lo, s2               ; encoding: [0x7e,0x02,0x85,0x83]

s_min_u32 s5, flat_scratch_hi, s2
// CHECK: s_min_u32 s5, flat_scratch_hi, s2       ; encoding: [0x69,0x02,0x85,0x83]

s_min_u32 s5, flat_scratch_lo, s2
// CHECK: s_min_u32 s5, flat_scratch_lo, s2       ; encoding: [0x68,0x02,0x85,0x83]

s_min_u32 s5, m0, s2
// CHECK: s_min_u32 s5, m0, s2                    ; encoding: [0x7c,0x02,0x85,0x83]

s_min_u32 s5, s1, -1
// CHECK: s_min_u32 s5, s1, -1                    ; encoding: [0x01,0xc1,0x85,0x83]

s_min_u32 s5, s1, -4.0
// CHECK: s_min_u32 s5, s1, -4.0                  ; encoding: [0x01,0xf7,0x85,0x83]

s_min_u32 s5, s1, 0
// CHECK: s_min_u32 s5, s1, 0                     ; encoding: [0x01,0x80,0x85,0x83]

s_min_u32 s5, s1, 0.5
// CHECK: s_min_u32 s5, s1, 0.5                   ; encoding: [0x01,0xf0,0x85,0x83]

s_min_u32 s5, s1, 0x3f717273
// CHECK: s_min_u32 s5, s1, 0x3f717273            ; encoding: [0x01,0xff,0x85,0x83,0x73,0x72,0x71,0x3f]

s_min_u32 s5, s1, 0xaf123456
// CHECK: s_min_u32 s5, s1, 0xaf123456            ; encoding: [0x01,0xff,0x85,0x83,0x56,0x34,0x12,0xaf]

s_min_u32 s5, s1, exec_hi
// CHECK: s_min_u32 s5, s1, exec_hi               ; encoding: [0x01,0x7f,0x85,0x83]

s_min_u32 s5, s1, exec_lo
// CHECK: s_min_u32 s5, s1, exec_lo               ; encoding: [0x01,0x7e,0x85,0x83]

s_min_u32 s5, s1, flat_scratch_hi
// CHECK: s_min_u32 s5, s1, flat_scratch_hi       ; encoding: [0x01,0x69,0x85,0x83]

s_min_u32 s5, s1, flat_scratch_lo
// CHECK: s_min_u32 s5, s1, flat_scratch_lo       ; encoding: [0x01,0x68,0x85,0x83]

s_min_u32 s5, s1, m0
// CHECK: s_min_u32 s5, s1, m0                    ; encoding: [0x01,0x7c,0x85,0x83]

s_min_u32 s5, s1, s103
// CHECK: s_min_u32 s5, s1, s103                  ; encoding: [0x01,0x67,0x85,0x83]

s_min_u32 s5, s1, s2
// CHECK: s_min_u32 s5, s1, s2                    ; encoding: [0x01,0x02,0x85,0x83]

s_min_u32 s5, s1, src_execz
// CHECK: s_min_u32 s5, s1, src_execz             ; encoding: [0x01,0xfc,0x85,0x83]

s_min_u32 s5, s1, src_scc
// CHECK: s_min_u32 s5, s1, src_scc               ; encoding: [0x01,0xfd,0x85,0x83]

s_min_u32 s5, s1, src_vccz
// CHECK: s_min_u32 s5, s1, src_vccz              ; encoding: [0x01,0xfb,0x85,0x83]

s_min_u32 s5, s1, tba_hi
// CHECK: s_min_u32 s5, s1, tba_hi                ; encoding: [0x01,0x6d,0x85,0x83]

s_min_u32 s5, s1, tba_lo
// CHECK: s_min_u32 s5, s1, tba_lo                ; encoding: [0x01,0x6c,0x85,0x83]

s_min_u32 s5, s1, tma_hi
// CHECK: s_min_u32 s5, s1, tma_hi                ; encoding: [0x01,0x6f,0x85,0x83]

s_min_u32 s5, s1, tma_lo
// CHECK: s_min_u32 s5, s1, tma_lo                ; encoding: [0x01,0x6e,0x85,0x83]

s_min_u32 s5, s1, ttmp11
// CHECK: s_min_u32 s5, s1, ttmp11                ; encoding: [0x01,0x7b,0x85,0x83]

s_min_u32 s5, s1, vcc_hi
// CHECK: s_min_u32 s5, s1, vcc_hi                ; encoding: [0x01,0x6b,0x85,0x83]

s_min_u32 s5, s1, vcc_lo
// CHECK: s_min_u32 s5, s1, vcc_lo                ; encoding: [0x01,0x6a,0x85,0x83]

s_min_u32 s5, s103, s2
// CHECK: s_min_u32 s5, s103, s2                  ; encoding: [0x67,0x02,0x85,0x83]

s_min_u32 s5, src_execz, s2
// CHECK: s_min_u32 s5, src_execz, s2             ; encoding: [0xfc,0x02,0x85,0x83]

s_min_u32 s5, src_scc, s2
// CHECK: s_min_u32 s5, src_scc, s2               ; encoding: [0xfd,0x02,0x85,0x83]

s_min_u32 s5, src_vccz, s2
// CHECK: s_min_u32 s5, src_vccz, s2              ; encoding: [0xfb,0x02,0x85,0x83]

s_min_u32 s5, tba_hi, s2
// CHECK: s_min_u32 s5, tba_hi, s2                ; encoding: [0x6d,0x02,0x85,0x83]

s_min_u32 s5, tba_lo, s2
// CHECK: s_min_u32 s5, tba_lo, s2                ; encoding: [0x6c,0x02,0x85,0x83]

s_min_u32 s5, tma_hi, s2
// CHECK: s_min_u32 s5, tma_hi, s2                ; encoding: [0x6f,0x02,0x85,0x83]

s_min_u32 s5, tma_lo, s2
// CHECK: s_min_u32 s5, tma_lo, s2                ; encoding: [0x6e,0x02,0x85,0x83]

s_min_u32 s5, ttmp11, s2
// CHECK: s_min_u32 s5, ttmp11, s2                ; encoding: [0x7b,0x02,0x85,0x83]

s_min_u32 s5, vcc_hi, s2
// CHECK: s_min_u32 s5, vcc_hi, s2                ; encoding: [0x6b,0x02,0x85,0x83]

s_min_u32 s5, vcc_lo, s2
// CHECK: s_min_u32 s5, vcc_lo, s2                ; encoding: [0x6a,0x02,0x85,0x83]

s_min_u32 tba_hi, s1, s2
// CHECK: s_min_u32 tba_hi, s1, s2                ; encoding: [0x01,0x02,0xed,0x83]

s_min_u32 tba_lo, s1, s2
// CHECK: s_min_u32 tba_lo, s1, s2                ; encoding: [0x01,0x02,0xec,0x83]

s_min_u32 tma_hi, s1, s2
// CHECK: s_min_u32 tma_hi, s1, s2                ; encoding: [0x01,0x02,0xef,0x83]

s_min_u32 tma_lo, s1, s2
// CHECK: s_min_u32 tma_lo, s1, s2                ; encoding: [0x01,0x02,0xee,0x83]

s_min_u32 ttmp11, s1, s2
// CHECK: s_min_u32 ttmp11, s1, s2                ; encoding: [0x01,0x02,0xfb,0x83]

s_min_u32 vcc_hi, s1, s2
// CHECK: s_min_u32 vcc_hi, s1, s2                ; encoding: [0x01,0x02,0xeb,0x83]

s_min_u32 vcc_lo, s1, s2
// CHECK: s_min_u32 vcc_lo, s1, s2                ; encoding: [0x01,0x02,0xea,0x83]

s_mul_i32 exec_hi, s1, s2
// CHECK: s_mul_i32 exec_hi, s1, s2               ; encoding: [0x01,0x02,0x7f,0x93]

s_mul_i32 exec_lo, s1, s2
// CHECK: s_mul_i32 exec_lo, s1, s2               ; encoding: [0x01,0x02,0x7e,0x93]

s_mul_i32 flat_scratch_hi, s1, s2
// CHECK: s_mul_i32 flat_scratch_hi, s1, s2       ; encoding: [0x01,0x02,0x69,0x93]

s_mul_i32 flat_scratch_lo, s1, s2
// CHECK: s_mul_i32 flat_scratch_lo, s1, s2       ; encoding: [0x01,0x02,0x68,0x93]

s_mul_i32 m0, s1, s2
// CHECK: s_mul_i32 m0, s1, s2                    ; encoding: [0x01,0x02,0x7c,0x93]

s_mul_i32 s103, s1, s2
// CHECK: s_mul_i32 s103, s1, s2                  ; encoding: [0x01,0x02,0x67,0x93]

s_mul_i32 s5, -1, s2
// CHECK: s_mul_i32 s5, -1, s2                    ; encoding: [0xc1,0x02,0x05,0x93]

s_mul_i32 s5, -4.0, s2
// CHECK: s_mul_i32 s5, -4.0, s2                  ; encoding: [0xf7,0x02,0x05,0x93]

s_mul_i32 s5, 0, s2
// CHECK: s_mul_i32 s5, 0, s2                     ; encoding: [0x80,0x02,0x05,0x93]

s_mul_i32 s5, 0.5, s2
// CHECK: s_mul_i32 s5, 0.5, s2                   ; encoding: [0xf0,0x02,0x05,0x93]

s_mul_i32 s5, 0x3f717273, s2
// CHECK: s_mul_i32 s5, 0x3f717273, s2            ; encoding: [0xff,0x02,0x05,0x93,0x73,0x72,0x71,0x3f]

s_mul_i32 s5, 0xaf123456, s2
// CHECK: s_mul_i32 s5, 0xaf123456, s2            ; encoding: [0xff,0x02,0x05,0x93,0x56,0x34,0x12,0xaf]

s_mul_i32 s5, exec_hi, s2
// CHECK: s_mul_i32 s5, exec_hi, s2               ; encoding: [0x7f,0x02,0x05,0x93]

s_mul_i32 s5, exec_lo, s2
// CHECK: s_mul_i32 s5, exec_lo, s2               ; encoding: [0x7e,0x02,0x05,0x93]

s_mul_i32 s5, flat_scratch_hi, s2
// CHECK: s_mul_i32 s5, flat_scratch_hi, s2       ; encoding: [0x69,0x02,0x05,0x93]

s_mul_i32 s5, flat_scratch_lo, s2
// CHECK: s_mul_i32 s5, flat_scratch_lo, s2       ; encoding: [0x68,0x02,0x05,0x93]

s_mul_i32 s5, m0, s2
// CHECK: s_mul_i32 s5, m0, s2                    ; encoding: [0x7c,0x02,0x05,0x93]

s_mul_i32 s5, s1, -1
// CHECK: s_mul_i32 s5, s1, -1                    ; encoding: [0x01,0xc1,0x05,0x93]

s_mul_i32 s5, s1, -4.0
// CHECK: s_mul_i32 s5, s1, -4.0                  ; encoding: [0x01,0xf7,0x05,0x93]

s_mul_i32 s5, s1, 0
// CHECK: s_mul_i32 s5, s1, 0                     ; encoding: [0x01,0x80,0x05,0x93]

s_mul_i32 s5, s1, 0.5
// CHECK: s_mul_i32 s5, s1, 0.5                   ; encoding: [0x01,0xf0,0x05,0x93]

s_mul_i32 s5, s1, 0x3f717273
// CHECK: s_mul_i32 s5, s1, 0x3f717273            ; encoding: [0x01,0xff,0x05,0x93,0x73,0x72,0x71,0x3f]

s_mul_i32 s5, s1, 0xaf123456
// CHECK: s_mul_i32 s5, s1, 0xaf123456            ; encoding: [0x01,0xff,0x05,0x93,0x56,0x34,0x12,0xaf]

s_mul_i32 s5, s1, exec_hi
// CHECK: s_mul_i32 s5, s1, exec_hi               ; encoding: [0x01,0x7f,0x05,0x93]

s_mul_i32 s5, s1, exec_lo
// CHECK: s_mul_i32 s5, s1, exec_lo               ; encoding: [0x01,0x7e,0x05,0x93]

s_mul_i32 s5, s1, flat_scratch_hi
// CHECK: s_mul_i32 s5, s1, flat_scratch_hi       ; encoding: [0x01,0x69,0x05,0x93]

s_mul_i32 s5, s1, flat_scratch_lo
// CHECK: s_mul_i32 s5, s1, flat_scratch_lo       ; encoding: [0x01,0x68,0x05,0x93]

s_mul_i32 s5, s1, m0
// CHECK: s_mul_i32 s5, s1, m0                    ; encoding: [0x01,0x7c,0x05,0x93]

s_mul_i32 s5, s1, s103
// CHECK: s_mul_i32 s5, s1, s103                  ; encoding: [0x01,0x67,0x05,0x93]

s_mul_i32 s5, s1, s2
// CHECK: s_mul_i32 s5, s1, s2                    ; encoding: [0x01,0x02,0x05,0x93]

s_mul_i32 s5, s1, src_execz
// CHECK: s_mul_i32 s5, s1, src_execz             ; encoding: [0x01,0xfc,0x05,0x93]

s_mul_i32 s5, s1, src_scc
// CHECK: s_mul_i32 s5, s1, src_scc               ; encoding: [0x01,0xfd,0x05,0x93]

s_mul_i32 s5, s1, src_vccz
// CHECK: s_mul_i32 s5, s1, src_vccz              ; encoding: [0x01,0xfb,0x05,0x93]

s_mul_i32 s5, s1, tba_hi
// CHECK: s_mul_i32 s5, s1, tba_hi                ; encoding: [0x01,0x6d,0x05,0x93]

s_mul_i32 s5, s1, tba_lo
// CHECK: s_mul_i32 s5, s1, tba_lo                ; encoding: [0x01,0x6c,0x05,0x93]

s_mul_i32 s5, s1, tma_hi
// CHECK: s_mul_i32 s5, s1, tma_hi                ; encoding: [0x01,0x6f,0x05,0x93]

s_mul_i32 s5, s1, tma_lo
// CHECK: s_mul_i32 s5, s1, tma_lo                ; encoding: [0x01,0x6e,0x05,0x93]

s_mul_i32 s5, s1, ttmp11
// CHECK: s_mul_i32 s5, s1, ttmp11                ; encoding: [0x01,0x7b,0x05,0x93]

s_mul_i32 s5, s1, vcc_hi
// CHECK: s_mul_i32 s5, s1, vcc_hi                ; encoding: [0x01,0x6b,0x05,0x93]

s_mul_i32 s5, s1, vcc_lo
// CHECK: s_mul_i32 s5, s1, vcc_lo                ; encoding: [0x01,0x6a,0x05,0x93]

s_mul_i32 s5, s103, s2
// CHECK: s_mul_i32 s5, s103, s2                  ; encoding: [0x67,0x02,0x05,0x93]

s_mul_i32 s5, src_execz, s2
// CHECK: s_mul_i32 s5, src_execz, s2             ; encoding: [0xfc,0x02,0x05,0x93]

s_mul_i32 s5, src_scc, s2
// CHECK: s_mul_i32 s5, src_scc, s2               ; encoding: [0xfd,0x02,0x05,0x93]

s_mul_i32 s5, src_vccz, s2
// CHECK: s_mul_i32 s5, src_vccz, s2              ; encoding: [0xfb,0x02,0x05,0x93]

s_mul_i32 s5, tba_hi, s2
// CHECK: s_mul_i32 s5, tba_hi, s2                ; encoding: [0x6d,0x02,0x05,0x93]

s_mul_i32 s5, tba_lo, s2
// CHECK: s_mul_i32 s5, tba_lo, s2                ; encoding: [0x6c,0x02,0x05,0x93]

s_mul_i32 s5, tma_hi, s2
// CHECK: s_mul_i32 s5, tma_hi, s2                ; encoding: [0x6f,0x02,0x05,0x93]

s_mul_i32 s5, tma_lo, s2
// CHECK: s_mul_i32 s5, tma_lo, s2                ; encoding: [0x6e,0x02,0x05,0x93]

s_mul_i32 s5, ttmp11, s2
// CHECK: s_mul_i32 s5, ttmp11, s2                ; encoding: [0x7b,0x02,0x05,0x93]

s_mul_i32 s5, vcc_hi, s2
// CHECK: s_mul_i32 s5, vcc_hi, s2                ; encoding: [0x6b,0x02,0x05,0x93]

s_mul_i32 s5, vcc_lo, s2
// CHECK: s_mul_i32 s5, vcc_lo, s2                ; encoding: [0x6a,0x02,0x05,0x93]

s_mul_i32 tba_hi, s1, s2
// CHECK: s_mul_i32 tba_hi, s1, s2                ; encoding: [0x01,0x02,0x6d,0x93]

s_mul_i32 tba_lo, s1, s2
// CHECK: s_mul_i32 tba_lo, s1, s2                ; encoding: [0x01,0x02,0x6c,0x93]

s_mul_i32 tma_hi, s1, s2
// CHECK: s_mul_i32 tma_hi, s1, s2                ; encoding: [0x01,0x02,0x6f,0x93]

s_mul_i32 tma_lo, s1, s2
// CHECK: s_mul_i32 tma_lo, s1, s2                ; encoding: [0x01,0x02,0x6e,0x93]

s_mul_i32 ttmp11, s1, s2
// CHECK: s_mul_i32 ttmp11, s1, s2                ; encoding: [0x01,0x02,0x7b,0x93]

s_mul_i32 vcc_hi, s1, s2
// CHECK: s_mul_i32 vcc_hi, s1, s2                ; encoding: [0x01,0x02,0x6b,0x93]

s_mul_i32 vcc_lo, s1, s2
// CHECK: s_mul_i32 vcc_lo, s1, s2                ; encoding: [0x01,0x02,0x6a,0x93]

s_nand_b32 exec_hi, s1, s2
// CHECK: s_nand_b32 exec_hi, s1, s2              ; encoding: [0x01,0x02,0x7f,0x8c]

s_nand_b32 exec_lo, s1, s2
// CHECK: s_nand_b32 exec_lo, s1, s2              ; encoding: [0x01,0x02,0x7e,0x8c]

s_nand_b32 flat_scratch_hi, s1, s2
// CHECK: s_nand_b32 flat_scratch_hi, s1, s2      ; encoding: [0x01,0x02,0x69,0x8c]

s_nand_b32 flat_scratch_lo, s1, s2
// CHECK: s_nand_b32 flat_scratch_lo, s1, s2      ; encoding: [0x01,0x02,0x68,0x8c]

s_nand_b32 m0, s1, s2
// CHECK: s_nand_b32 m0, s1, s2                   ; encoding: [0x01,0x02,0x7c,0x8c]

s_nand_b32 s103, s1, s2
// CHECK: s_nand_b32 s103, s1, s2                 ; encoding: [0x01,0x02,0x67,0x8c]

s_nand_b32 s5, -1, s2
// CHECK: s_nand_b32 s5, -1, s2                   ; encoding: [0xc1,0x02,0x05,0x8c]

s_nand_b32 s5, -4.0, s2
// CHECK: s_nand_b32 s5, -4.0, s2                 ; encoding: [0xf7,0x02,0x05,0x8c]

s_nand_b32 s5, 0, s2
// CHECK: s_nand_b32 s5, 0, s2                    ; encoding: [0x80,0x02,0x05,0x8c]

s_nand_b32 s5, 0.5, s2
// CHECK: s_nand_b32 s5, 0.5, s2                  ; encoding: [0xf0,0x02,0x05,0x8c]

s_nand_b32 s5, 0x3f717273, s2
// CHECK: s_nand_b32 s5, 0x3f717273, s2           ; encoding: [0xff,0x02,0x05,0x8c,0x73,0x72,0x71,0x3f]

s_nand_b32 s5, 0xaf123456, s2
// CHECK: s_nand_b32 s5, 0xaf123456, s2           ; encoding: [0xff,0x02,0x05,0x8c,0x56,0x34,0x12,0xaf]

s_nand_b32 s5, exec_hi, s2
// CHECK: s_nand_b32 s5, exec_hi, s2              ; encoding: [0x7f,0x02,0x05,0x8c]

s_nand_b32 s5, exec_lo, s2
// CHECK: s_nand_b32 s5, exec_lo, s2              ; encoding: [0x7e,0x02,0x05,0x8c]

s_nand_b32 s5, flat_scratch_hi, s2
// CHECK: s_nand_b32 s5, flat_scratch_hi, s2      ; encoding: [0x69,0x02,0x05,0x8c]

s_nand_b32 s5, flat_scratch_lo, s2
// CHECK: s_nand_b32 s5, flat_scratch_lo, s2      ; encoding: [0x68,0x02,0x05,0x8c]

s_nand_b32 s5, m0, s2
// CHECK: s_nand_b32 s5, m0, s2                   ; encoding: [0x7c,0x02,0x05,0x8c]

s_nand_b32 s5, s1, -1
// CHECK: s_nand_b32 s5, s1, -1                   ; encoding: [0x01,0xc1,0x05,0x8c]

s_nand_b32 s5, s1, -4.0
// CHECK: s_nand_b32 s5, s1, -4.0                 ; encoding: [0x01,0xf7,0x05,0x8c]

s_nand_b32 s5, s1, 0
// CHECK: s_nand_b32 s5, s1, 0                    ; encoding: [0x01,0x80,0x05,0x8c]

s_nand_b32 s5, s1, 0.5
// CHECK: s_nand_b32 s5, s1, 0.5                  ; encoding: [0x01,0xf0,0x05,0x8c]

s_nand_b32 s5, s1, 0x3f717273
// CHECK: s_nand_b32 s5, s1, 0x3f717273           ; encoding: [0x01,0xff,0x05,0x8c,0x73,0x72,0x71,0x3f]

s_nand_b32 s5, s1, 0xaf123456
// CHECK: s_nand_b32 s5, s1, 0xaf123456           ; encoding: [0x01,0xff,0x05,0x8c,0x56,0x34,0x12,0xaf]

s_nand_b32 s5, s1, exec_hi
// CHECK: s_nand_b32 s5, s1, exec_hi              ; encoding: [0x01,0x7f,0x05,0x8c]

s_nand_b32 s5, s1, exec_lo
// CHECK: s_nand_b32 s5, s1, exec_lo              ; encoding: [0x01,0x7e,0x05,0x8c]

s_nand_b32 s5, s1, flat_scratch_hi
// CHECK: s_nand_b32 s5, s1, flat_scratch_hi      ; encoding: [0x01,0x69,0x05,0x8c]

s_nand_b32 s5, s1, flat_scratch_lo
// CHECK: s_nand_b32 s5, s1, flat_scratch_lo      ; encoding: [0x01,0x68,0x05,0x8c]

s_nand_b32 s5, s1, m0
// CHECK: s_nand_b32 s5, s1, m0                   ; encoding: [0x01,0x7c,0x05,0x8c]

s_nand_b32 s5, s1, s103
// CHECK: s_nand_b32 s5, s1, s103                 ; encoding: [0x01,0x67,0x05,0x8c]

s_nand_b32 s5, s1, s2
// CHECK: s_nand_b32 s5, s1, s2                   ; encoding: [0x01,0x02,0x05,0x8c]

s_nand_b32 s5, s1, src_execz
// CHECK: s_nand_b32 s5, s1, src_execz            ; encoding: [0x01,0xfc,0x05,0x8c]

s_nand_b32 s5, s1, src_scc
// CHECK: s_nand_b32 s5, s1, src_scc              ; encoding: [0x01,0xfd,0x05,0x8c]

s_nand_b32 s5, s1, src_vccz
// CHECK: s_nand_b32 s5, s1, src_vccz             ; encoding: [0x01,0xfb,0x05,0x8c]

s_nand_b32 s5, s1, tba_hi
// CHECK: s_nand_b32 s5, s1, tba_hi               ; encoding: [0x01,0x6d,0x05,0x8c]

s_nand_b32 s5, s1, tba_lo
// CHECK: s_nand_b32 s5, s1, tba_lo               ; encoding: [0x01,0x6c,0x05,0x8c]

s_nand_b32 s5, s1, tma_hi
// CHECK: s_nand_b32 s5, s1, tma_hi               ; encoding: [0x01,0x6f,0x05,0x8c]

s_nand_b32 s5, s1, tma_lo
// CHECK: s_nand_b32 s5, s1, tma_lo               ; encoding: [0x01,0x6e,0x05,0x8c]

s_nand_b32 s5, s1, ttmp11
// CHECK: s_nand_b32 s5, s1, ttmp11               ; encoding: [0x01,0x7b,0x05,0x8c]

s_nand_b32 s5, s1, vcc_hi
// CHECK: s_nand_b32 s5, s1, vcc_hi               ; encoding: [0x01,0x6b,0x05,0x8c]

s_nand_b32 s5, s1, vcc_lo
// CHECK: s_nand_b32 s5, s1, vcc_lo               ; encoding: [0x01,0x6a,0x05,0x8c]

s_nand_b32 s5, s103, s2
// CHECK: s_nand_b32 s5, s103, s2                 ; encoding: [0x67,0x02,0x05,0x8c]

s_nand_b32 s5, src_execz, s2
// CHECK: s_nand_b32 s5, src_execz, s2            ; encoding: [0xfc,0x02,0x05,0x8c]

s_nand_b32 s5, src_scc, s2
// CHECK: s_nand_b32 s5, src_scc, s2              ; encoding: [0xfd,0x02,0x05,0x8c]

s_nand_b32 s5, src_vccz, s2
// CHECK: s_nand_b32 s5, src_vccz, s2             ; encoding: [0xfb,0x02,0x05,0x8c]

s_nand_b32 s5, tba_hi, s2
// CHECK: s_nand_b32 s5, tba_hi, s2               ; encoding: [0x6d,0x02,0x05,0x8c]

s_nand_b32 s5, tba_lo, s2
// CHECK: s_nand_b32 s5, tba_lo, s2               ; encoding: [0x6c,0x02,0x05,0x8c]

s_nand_b32 s5, tma_hi, s2
// CHECK: s_nand_b32 s5, tma_hi, s2               ; encoding: [0x6f,0x02,0x05,0x8c]

s_nand_b32 s5, tma_lo, s2
// CHECK: s_nand_b32 s5, tma_lo, s2               ; encoding: [0x6e,0x02,0x05,0x8c]

s_nand_b32 s5, ttmp11, s2
// CHECK: s_nand_b32 s5, ttmp11, s2               ; encoding: [0x7b,0x02,0x05,0x8c]

s_nand_b32 s5, vcc_hi, s2
// CHECK: s_nand_b32 s5, vcc_hi, s2               ; encoding: [0x6b,0x02,0x05,0x8c]

s_nand_b32 s5, vcc_lo, s2
// CHECK: s_nand_b32 s5, vcc_lo, s2               ; encoding: [0x6a,0x02,0x05,0x8c]

s_nand_b32 tba_hi, s1, s2
// CHECK: s_nand_b32 tba_hi, s1, s2               ; encoding: [0x01,0x02,0x6d,0x8c]

s_nand_b32 tba_lo, s1, s2
// CHECK: s_nand_b32 tba_lo, s1, s2               ; encoding: [0x01,0x02,0x6c,0x8c]

s_nand_b32 tma_hi, s1, s2
// CHECK: s_nand_b32 tma_hi, s1, s2               ; encoding: [0x01,0x02,0x6f,0x8c]

s_nand_b32 tma_lo, s1, s2
// CHECK: s_nand_b32 tma_lo, s1, s2               ; encoding: [0x01,0x02,0x6e,0x8c]

s_nand_b32 ttmp11, s1, s2
// CHECK: s_nand_b32 ttmp11, s1, s2               ; encoding: [0x01,0x02,0x7b,0x8c]

s_nand_b32 vcc_hi, s1, s2
// CHECK: s_nand_b32 vcc_hi, s1, s2               ; encoding: [0x01,0x02,0x6b,0x8c]

s_nand_b32 vcc_lo, s1, s2
// CHECK: s_nand_b32 vcc_lo, s1, s2               ; encoding: [0x01,0x02,0x6a,0x8c]

s_nand_b64 exec, s[2:3], s[4:5]
// CHECK: s_nand_b64 exec, s[2:3], s[4:5]         ; encoding: [0x02,0x04,0xfe,0x8c]

s_nand_b64 flat_scratch, s[2:3], s[4:5]
// CHECK: s_nand_b64 flat_scratch, s[2:3], s[4:5] ; encoding: [0x02,0x04,0xe8,0x8c]

s_nand_b64 s[102:103], s[2:3], s[4:5]
// CHECK: s_nand_b64 s[102:103], s[2:3], s[4:5]   ; encoding: [0x02,0x04,0xe6,0x8c]

s_nand_b64 s[10:11], -1, s[4:5]
// CHECK: s_nand_b64 s[10:11], -1, s[4:5]         ; encoding: [0xc1,0x04,0x8a,0x8c]

s_nand_b64 s[10:11], -4.0, s[4:5]
// CHECK: s_nand_b64 s[10:11], -4.0, s[4:5]       ; encoding: [0xf7,0x04,0x8a,0x8c]

s_nand_b64 s[10:11], 0, s[4:5]
// CHECK: s_nand_b64 s[10:11], 0, s[4:5]          ; encoding: [0x80,0x04,0x8a,0x8c]

s_nand_b64 s[10:11], 0.5, s[4:5]
// CHECK: s_nand_b64 s[10:11], 0.5, s[4:5]        ; encoding: [0xf0,0x04,0x8a,0x8c]

s_nand_b64 s[10:11], 0x3f717273, s[4:5]
// CHECK: s_nand_b64 s[10:11], 0x3f717273, s[4:5] ; encoding: [0xff,0x04,0x8a,0x8c,0x73,0x72,0x71,0x3f]

s_nand_b64 s[10:11], 0xaf123456, s[4:5]
// CHECK: s_nand_b64 s[10:11], 0xaf123456, s[4:5] ; encoding: [0xff,0x04,0x8a,0x8c,0x56,0x34,0x12,0xaf]

s_nand_b64 s[10:11], exec, s[4:5]
// CHECK: s_nand_b64 s[10:11], exec, s[4:5]       ; encoding: [0x7e,0x04,0x8a,0x8c]

s_nand_b64 s[10:11], flat_scratch, s[4:5]
// CHECK: s_nand_b64 s[10:11], flat_scratch, s[4:5] ; encoding: [0x68,0x04,0x8a,0x8c]

s_nand_b64 s[10:11], s[102:103], s[4:5]
// CHECK: s_nand_b64 s[10:11], s[102:103], s[4:5] ; encoding: [0x66,0x04,0x8a,0x8c]

s_nand_b64 s[10:11], s[2:3], -1
// CHECK: s_nand_b64 s[10:11], s[2:3], -1         ; encoding: [0x02,0xc1,0x8a,0x8c]

s_nand_b64 s[10:11], s[2:3], -4.0
// CHECK: s_nand_b64 s[10:11], s[2:3], -4.0       ; encoding: [0x02,0xf7,0x8a,0x8c]

s_nand_b64 s[10:11], s[2:3], 0
// CHECK: s_nand_b64 s[10:11], s[2:3], 0          ; encoding: [0x02,0x80,0x8a,0x8c]

s_nand_b64 s[10:11], s[2:3], 0.5
// CHECK: s_nand_b64 s[10:11], s[2:3], 0.5        ; encoding: [0x02,0xf0,0x8a,0x8c]

s_nand_b64 s[10:11], s[2:3], 0x3f717273
// CHECK: s_nand_b64 s[10:11], s[2:3], 0x3f717273 ; encoding: [0x02,0xff,0x8a,0x8c,0x73,0x72,0x71,0x3f]

s_nand_b64 s[10:11], s[2:3], 0xaf123456
// CHECK: s_nand_b64 s[10:11], s[2:3], 0xaf123456 ; encoding: [0x02,0xff,0x8a,0x8c,0x56,0x34,0x12,0xaf]

s_nand_b64 s[10:11], s[2:3], exec
// CHECK: s_nand_b64 s[10:11], s[2:3], exec       ; encoding: [0x02,0x7e,0x8a,0x8c]

s_nand_b64 s[10:11], s[2:3], flat_scratch
// CHECK: s_nand_b64 s[10:11], s[2:3], flat_scratch ; encoding: [0x02,0x68,0x8a,0x8c]

s_nand_b64 s[10:11], s[2:3], s[102:103]
// CHECK: s_nand_b64 s[10:11], s[2:3], s[102:103] ; encoding: [0x02,0x66,0x8a,0x8c]

s_nand_b64 s[10:11], s[2:3], s[4:5]
// CHECK: s_nand_b64 s[10:11], s[2:3], s[4:5]     ; encoding: [0x02,0x04,0x8a,0x8c]

s_nand_b64 s[10:11], s[2:3], s[6:7]
// CHECK: s_nand_b64 s[10:11], s[2:3], s[6:7]     ; encoding: [0x02,0x06,0x8a,0x8c]

s_nand_b64 s[10:11], s[2:3], src_execz
// CHECK: s_nand_b64 s[10:11], s[2:3], src_execz  ; encoding: [0x02,0xfc,0x8a,0x8c]

s_nand_b64 s[10:11], s[2:3], src_scc
// CHECK: s_nand_b64 s[10:11], s[2:3], src_scc    ; encoding: [0x02,0xfd,0x8a,0x8c]

s_nand_b64 s[10:11], s[2:3], src_vccz
// CHECK: s_nand_b64 s[10:11], s[2:3], src_vccz   ; encoding: [0x02,0xfb,0x8a,0x8c]

s_nand_b64 s[10:11], s[2:3], tba
// CHECK: s_nand_b64 s[10:11], s[2:3], tba        ; encoding: [0x02,0x6c,0x8a,0x8c]

s_nand_b64 s[10:11], s[2:3], tma
// CHECK: s_nand_b64 s[10:11], s[2:3], tma        ; encoding: [0x02,0x6e,0x8a,0x8c]

s_nand_b64 s[10:11], s[2:3], ttmp[10:11]
// CHECK: s_nand_b64 s[10:11], s[2:3], ttmp[10:11] ; encoding: [0x02,0x7a,0x8a,0x8c]

s_nand_b64 s[10:11], s[2:3], vcc
// CHECK: s_nand_b64 s[10:11], s[2:3], vcc        ; encoding: [0x02,0x6a,0x8a,0x8c]

s_nand_b64 s[10:11], s[4:5], s[4:5]
// CHECK: s_nand_b64 s[10:11], s[4:5], s[4:5]     ; encoding: [0x04,0x04,0x8a,0x8c]

s_nand_b64 s[10:11], src_execz, s[4:5]
// CHECK: s_nand_b64 s[10:11], src_execz, s[4:5]  ; encoding: [0xfc,0x04,0x8a,0x8c]

s_nand_b64 s[10:11], src_scc, s[4:5]
// CHECK: s_nand_b64 s[10:11], src_scc, s[4:5]    ; encoding: [0xfd,0x04,0x8a,0x8c]

s_nand_b64 s[10:11], src_vccz, s[4:5]
// CHECK: s_nand_b64 s[10:11], src_vccz, s[4:5]   ; encoding: [0xfb,0x04,0x8a,0x8c]

s_nand_b64 s[10:11], tba, s[4:5]
// CHECK: s_nand_b64 s[10:11], tba, s[4:5]        ; encoding: [0x6c,0x04,0x8a,0x8c]

s_nand_b64 s[10:11], tma, s[4:5]
// CHECK: s_nand_b64 s[10:11], tma, s[4:5]        ; encoding: [0x6e,0x04,0x8a,0x8c]

s_nand_b64 s[10:11], ttmp[10:11], s[4:5]
// CHECK: s_nand_b64 s[10:11], ttmp[10:11], s[4:5] ; encoding: [0x7a,0x04,0x8a,0x8c]

s_nand_b64 s[10:11], vcc, s[4:5]
// CHECK: s_nand_b64 s[10:11], vcc, s[4:5]        ; encoding: [0x6a,0x04,0x8a,0x8c]

s_nand_b64 s[12:13], s[2:3], s[4:5]
// CHECK: s_nand_b64 s[12:13], s[2:3], s[4:5]     ; encoding: [0x02,0x04,0x8c,0x8c]

s_nand_b64 tba, s[2:3], s[4:5]
// CHECK: s_nand_b64 tba, s[2:3], s[4:5]          ; encoding: [0x02,0x04,0xec,0x8c]

s_nand_b64 tma, s[2:3], s[4:5]
// CHECK: s_nand_b64 tma, s[2:3], s[4:5]          ; encoding: [0x02,0x04,0xee,0x8c]

s_nand_b64 ttmp[10:11], s[2:3], s[4:5]
// CHECK: s_nand_b64 ttmp[10:11], s[2:3], s[4:5]  ; encoding: [0x02,0x04,0xfa,0x8c]

s_nand_b64 vcc, s[2:3], s[4:5]
// CHECK: s_nand_b64 vcc, s[2:3], s[4:5]          ; encoding: [0x02,0x04,0xea,0x8c]

s_nor_b32 exec_hi, s1, s2
// CHECK: s_nor_b32 exec_hi, s1, s2               ; encoding: [0x01,0x02,0x7f,0x8d]

s_nor_b32 exec_lo, s1, s2
// CHECK: s_nor_b32 exec_lo, s1, s2               ; encoding: [0x01,0x02,0x7e,0x8d]

s_nor_b32 flat_scratch_hi, s1, s2
// CHECK: s_nor_b32 flat_scratch_hi, s1, s2       ; encoding: [0x01,0x02,0x69,0x8d]

s_nor_b32 flat_scratch_lo, s1, s2
// CHECK: s_nor_b32 flat_scratch_lo, s1, s2       ; encoding: [0x01,0x02,0x68,0x8d]

s_nor_b32 m0, s1, s2
// CHECK: s_nor_b32 m0, s1, s2                    ; encoding: [0x01,0x02,0x7c,0x8d]

s_nor_b32 s103, s1, s2
// CHECK: s_nor_b32 s103, s1, s2                  ; encoding: [0x01,0x02,0x67,0x8d]

s_nor_b32 s5, -1, s2
// CHECK: s_nor_b32 s5, -1, s2                    ; encoding: [0xc1,0x02,0x05,0x8d]

s_nor_b32 s5, -4.0, s2
// CHECK: s_nor_b32 s5, -4.0, s2                  ; encoding: [0xf7,0x02,0x05,0x8d]

s_nor_b32 s5, 0, s2
// CHECK: s_nor_b32 s5, 0, s2                     ; encoding: [0x80,0x02,0x05,0x8d]

s_nor_b32 s5, 0.5, s2
// CHECK: s_nor_b32 s5, 0.5, s2                   ; encoding: [0xf0,0x02,0x05,0x8d]

s_nor_b32 s5, 0x3f717273, s2
// CHECK: s_nor_b32 s5, 0x3f717273, s2            ; encoding: [0xff,0x02,0x05,0x8d,0x73,0x72,0x71,0x3f]

s_nor_b32 s5, 0xaf123456, s2
// CHECK: s_nor_b32 s5, 0xaf123456, s2            ; encoding: [0xff,0x02,0x05,0x8d,0x56,0x34,0x12,0xaf]

s_nor_b32 s5, exec_hi, s2
// CHECK: s_nor_b32 s5, exec_hi, s2               ; encoding: [0x7f,0x02,0x05,0x8d]

s_nor_b32 s5, exec_lo, s2
// CHECK: s_nor_b32 s5, exec_lo, s2               ; encoding: [0x7e,0x02,0x05,0x8d]

s_nor_b32 s5, flat_scratch_hi, s2
// CHECK: s_nor_b32 s5, flat_scratch_hi, s2       ; encoding: [0x69,0x02,0x05,0x8d]

s_nor_b32 s5, flat_scratch_lo, s2
// CHECK: s_nor_b32 s5, flat_scratch_lo, s2       ; encoding: [0x68,0x02,0x05,0x8d]

s_nor_b32 s5, m0, s2
// CHECK: s_nor_b32 s5, m0, s2                    ; encoding: [0x7c,0x02,0x05,0x8d]

s_nor_b32 s5, s1, -1
// CHECK: s_nor_b32 s5, s1, -1                    ; encoding: [0x01,0xc1,0x05,0x8d]

s_nor_b32 s5, s1, -4.0
// CHECK: s_nor_b32 s5, s1, -4.0                  ; encoding: [0x01,0xf7,0x05,0x8d]

s_nor_b32 s5, s1, 0
// CHECK: s_nor_b32 s5, s1, 0                     ; encoding: [0x01,0x80,0x05,0x8d]

s_nor_b32 s5, s1, 0.5
// CHECK: s_nor_b32 s5, s1, 0.5                   ; encoding: [0x01,0xf0,0x05,0x8d]

s_nor_b32 s5, s1, 0x3f717273
// CHECK: s_nor_b32 s5, s1, 0x3f717273            ; encoding: [0x01,0xff,0x05,0x8d,0x73,0x72,0x71,0x3f]

s_nor_b32 s5, s1, 0xaf123456
// CHECK: s_nor_b32 s5, s1, 0xaf123456            ; encoding: [0x01,0xff,0x05,0x8d,0x56,0x34,0x12,0xaf]

s_nor_b32 s5, s1, exec_hi
// CHECK: s_nor_b32 s5, s1, exec_hi               ; encoding: [0x01,0x7f,0x05,0x8d]

s_nor_b32 s5, s1, exec_lo
// CHECK: s_nor_b32 s5, s1, exec_lo               ; encoding: [0x01,0x7e,0x05,0x8d]

s_nor_b32 s5, s1, flat_scratch_hi
// CHECK: s_nor_b32 s5, s1, flat_scratch_hi       ; encoding: [0x01,0x69,0x05,0x8d]

s_nor_b32 s5, s1, flat_scratch_lo
// CHECK: s_nor_b32 s5, s1, flat_scratch_lo       ; encoding: [0x01,0x68,0x05,0x8d]

s_nor_b32 s5, s1, m0
// CHECK: s_nor_b32 s5, s1, m0                    ; encoding: [0x01,0x7c,0x05,0x8d]

s_nor_b32 s5, s1, s103
// CHECK: s_nor_b32 s5, s1, s103                  ; encoding: [0x01,0x67,0x05,0x8d]

s_nor_b32 s5, s1, s2
// CHECK: s_nor_b32 s5, s1, s2                    ; encoding: [0x01,0x02,0x05,0x8d]

s_nor_b32 s5, s1, src_execz
// CHECK: s_nor_b32 s5, s1, src_execz             ; encoding: [0x01,0xfc,0x05,0x8d]

s_nor_b32 s5, s1, src_scc
// CHECK: s_nor_b32 s5, s1, src_scc               ; encoding: [0x01,0xfd,0x05,0x8d]

s_nor_b32 s5, s1, src_vccz
// CHECK: s_nor_b32 s5, s1, src_vccz              ; encoding: [0x01,0xfb,0x05,0x8d]

s_nor_b32 s5, s1, tba_hi
// CHECK: s_nor_b32 s5, s1, tba_hi                ; encoding: [0x01,0x6d,0x05,0x8d]

s_nor_b32 s5, s1, tba_lo
// CHECK: s_nor_b32 s5, s1, tba_lo                ; encoding: [0x01,0x6c,0x05,0x8d]

s_nor_b32 s5, s1, tma_hi
// CHECK: s_nor_b32 s5, s1, tma_hi                ; encoding: [0x01,0x6f,0x05,0x8d]

s_nor_b32 s5, s1, tma_lo
// CHECK: s_nor_b32 s5, s1, tma_lo                ; encoding: [0x01,0x6e,0x05,0x8d]

s_nor_b32 s5, s1, ttmp11
// CHECK: s_nor_b32 s5, s1, ttmp11                ; encoding: [0x01,0x7b,0x05,0x8d]

s_nor_b32 s5, s1, vcc_hi
// CHECK: s_nor_b32 s5, s1, vcc_hi                ; encoding: [0x01,0x6b,0x05,0x8d]

s_nor_b32 s5, s1, vcc_lo
// CHECK: s_nor_b32 s5, s1, vcc_lo                ; encoding: [0x01,0x6a,0x05,0x8d]

s_nor_b32 s5, s103, s2
// CHECK: s_nor_b32 s5, s103, s2                  ; encoding: [0x67,0x02,0x05,0x8d]

s_nor_b32 s5, src_execz, s2
// CHECK: s_nor_b32 s5, src_execz, s2             ; encoding: [0xfc,0x02,0x05,0x8d]

s_nor_b32 s5, src_scc, s2
// CHECK: s_nor_b32 s5, src_scc, s2               ; encoding: [0xfd,0x02,0x05,0x8d]

s_nor_b32 s5, src_vccz, s2
// CHECK: s_nor_b32 s5, src_vccz, s2              ; encoding: [0xfb,0x02,0x05,0x8d]

s_nor_b32 s5, tba_hi, s2
// CHECK: s_nor_b32 s5, tba_hi, s2                ; encoding: [0x6d,0x02,0x05,0x8d]

s_nor_b32 s5, tba_lo, s2
// CHECK: s_nor_b32 s5, tba_lo, s2                ; encoding: [0x6c,0x02,0x05,0x8d]

s_nor_b32 s5, tma_hi, s2
// CHECK: s_nor_b32 s5, tma_hi, s2                ; encoding: [0x6f,0x02,0x05,0x8d]

s_nor_b32 s5, tma_lo, s2
// CHECK: s_nor_b32 s5, tma_lo, s2                ; encoding: [0x6e,0x02,0x05,0x8d]

s_nor_b32 s5, ttmp11, s2
// CHECK: s_nor_b32 s5, ttmp11, s2                ; encoding: [0x7b,0x02,0x05,0x8d]

s_nor_b32 s5, vcc_hi, s2
// CHECK: s_nor_b32 s5, vcc_hi, s2                ; encoding: [0x6b,0x02,0x05,0x8d]

s_nor_b32 s5, vcc_lo, s2
// CHECK: s_nor_b32 s5, vcc_lo, s2                ; encoding: [0x6a,0x02,0x05,0x8d]

s_nor_b32 tba_hi, s1, s2
// CHECK: s_nor_b32 tba_hi, s1, s2                ; encoding: [0x01,0x02,0x6d,0x8d]

s_nor_b32 tba_lo, s1, s2
// CHECK: s_nor_b32 tba_lo, s1, s2                ; encoding: [0x01,0x02,0x6c,0x8d]

s_nor_b32 tma_hi, s1, s2
// CHECK: s_nor_b32 tma_hi, s1, s2                ; encoding: [0x01,0x02,0x6f,0x8d]

s_nor_b32 tma_lo, s1, s2
// CHECK: s_nor_b32 tma_lo, s1, s2                ; encoding: [0x01,0x02,0x6e,0x8d]

s_nor_b32 ttmp11, s1, s2
// CHECK: s_nor_b32 ttmp11, s1, s2                ; encoding: [0x01,0x02,0x7b,0x8d]

s_nor_b32 vcc_hi, s1, s2
// CHECK: s_nor_b32 vcc_hi, s1, s2                ; encoding: [0x01,0x02,0x6b,0x8d]

s_nor_b32 vcc_lo, s1, s2
// CHECK: s_nor_b32 vcc_lo, s1, s2                ; encoding: [0x01,0x02,0x6a,0x8d]

s_nor_b64 exec, s[2:3], s[4:5]
// CHECK: s_nor_b64 exec, s[2:3], s[4:5]          ; encoding: [0x02,0x04,0xfe,0x8d]

s_nor_b64 flat_scratch, s[2:3], s[4:5]
// CHECK: s_nor_b64 flat_scratch, s[2:3], s[4:5]  ; encoding: [0x02,0x04,0xe8,0x8d]

s_nor_b64 s[102:103], s[2:3], s[4:5]
// CHECK: s_nor_b64 s[102:103], s[2:3], s[4:5]    ; encoding: [0x02,0x04,0xe6,0x8d]

s_nor_b64 s[10:11], -1, s[4:5]
// CHECK: s_nor_b64 s[10:11], -1, s[4:5]          ; encoding: [0xc1,0x04,0x8a,0x8d]

s_nor_b64 s[10:11], -4.0, s[4:5]
// CHECK: s_nor_b64 s[10:11], -4.0, s[4:5]        ; encoding: [0xf7,0x04,0x8a,0x8d]

s_nor_b64 s[10:11], 0, s[4:5]
// CHECK: s_nor_b64 s[10:11], 0, s[4:5]           ; encoding: [0x80,0x04,0x8a,0x8d]

s_nor_b64 s[10:11], 0.5, s[4:5]
// CHECK: s_nor_b64 s[10:11], 0.5, s[4:5]         ; encoding: [0xf0,0x04,0x8a,0x8d]

s_nor_b64 s[10:11], 0x3f717273, s[4:5]
// CHECK: s_nor_b64 s[10:11], 0x3f717273, s[4:5]  ; encoding: [0xff,0x04,0x8a,0x8d,0x73,0x72,0x71,0x3f]

s_nor_b64 s[10:11], 0xaf123456, s[4:5]
// CHECK: s_nor_b64 s[10:11], 0xaf123456, s[4:5]  ; encoding: [0xff,0x04,0x8a,0x8d,0x56,0x34,0x12,0xaf]

s_nor_b64 s[10:11], exec, s[4:5]
// CHECK: s_nor_b64 s[10:11], exec, s[4:5]        ; encoding: [0x7e,0x04,0x8a,0x8d]

s_nor_b64 s[10:11], flat_scratch, s[4:5]
// CHECK: s_nor_b64 s[10:11], flat_scratch, s[4:5] ; encoding: [0x68,0x04,0x8a,0x8d]

s_nor_b64 s[10:11], s[102:103], s[4:5]
// CHECK: s_nor_b64 s[10:11], s[102:103], s[4:5]  ; encoding: [0x66,0x04,0x8a,0x8d]

s_nor_b64 s[10:11], s[2:3], -1
// CHECK: s_nor_b64 s[10:11], s[2:3], -1          ; encoding: [0x02,0xc1,0x8a,0x8d]

s_nor_b64 s[10:11], s[2:3], -4.0
// CHECK: s_nor_b64 s[10:11], s[2:3], -4.0        ; encoding: [0x02,0xf7,0x8a,0x8d]

s_nor_b64 s[10:11], s[2:3], 0
// CHECK: s_nor_b64 s[10:11], s[2:3], 0           ; encoding: [0x02,0x80,0x8a,0x8d]

s_nor_b64 s[10:11], s[2:3], 0.5
// CHECK: s_nor_b64 s[10:11], s[2:3], 0.5         ; encoding: [0x02,0xf0,0x8a,0x8d]

s_nor_b64 s[10:11], s[2:3], 0x3f717273
// CHECK: s_nor_b64 s[10:11], s[2:3], 0x3f717273  ; encoding: [0x02,0xff,0x8a,0x8d,0x73,0x72,0x71,0x3f]

s_nor_b64 s[10:11], s[2:3], 0xaf123456
// CHECK: s_nor_b64 s[10:11], s[2:3], 0xaf123456  ; encoding: [0x02,0xff,0x8a,0x8d,0x56,0x34,0x12,0xaf]

s_nor_b64 s[10:11], s[2:3], exec
// CHECK: s_nor_b64 s[10:11], s[2:3], exec        ; encoding: [0x02,0x7e,0x8a,0x8d]

s_nor_b64 s[10:11], s[2:3], flat_scratch
// CHECK: s_nor_b64 s[10:11], s[2:3], flat_scratch ; encoding: [0x02,0x68,0x8a,0x8d]

s_nor_b64 s[10:11], s[2:3], s[102:103]
// CHECK: s_nor_b64 s[10:11], s[2:3], s[102:103]  ; encoding: [0x02,0x66,0x8a,0x8d]

s_nor_b64 s[10:11], s[2:3], s[4:5]
// CHECK: s_nor_b64 s[10:11], s[2:3], s[4:5]      ; encoding: [0x02,0x04,0x8a,0x8d]

s_nor_b64 s[10:11], s[2:3], s[6:7]
// CHECK: s_nor_b64 s[10:11], s[2:3], s[6:7]      ; encoding: [0x02,0x06,0x8a,0x8d]

s_nor_b64 s[10:11], s[2:3], src_execz
// CHECK: s_nor_b64 s[10:11], s[2:3], src_execz   ; encoding: [0x02,0xfc,0x8a,0x8d]

s_nor_b64 s[10:11], s[2:3], src_scc
// CHECK: s_nor_b64 s[10:11], s[2:3], src_scc     ; encoding: [0x02,0xfd,0x8a,0x8d]

s_nor_b64 s[10:11], s[2:3], src_vccz
// CHECK: s_nor_b64 s[10:11], s[2:3], src_vccz    ; encoding: [0x02,0xfb,0x8a,0x8d]

s_nor_b64 s[10:11], s[2:3], tba
// CHECK: s_nor_b64 s[10:11], s[2:3], tba         ; encoding: [0x02,0x6c,0x8a,0x8d]

s_nor_b64 s[10:11], s[2:3], tma
// CHECK: s_nor_b64 s[10:11], s[2:3], tma         ; encoding: [0x02,0x6e,0x8a,0x8d]

s_nor_b64 s[10:11], s[2:3], ttmp[10:11]
// CHECK: s_nor_b64 s[10:11], s[2:3], ttmp[10:11] ; encoding: [0x02,0x7a,0x8a,0x8d]

s_nor_b64 s[10:11], s[2:3], vcc
// CHECK: s_nor_b64 s[10:11], s[2:3], vcc         ; encoding: [0x02,0x6a,0x8a,0x8d]

s_nor_b64 s[10:11], s[4:5], s[4:5]
// CHECK: s_nor_b64 s[10:11], s[4:5], s[4:5]      ; encoding: [0x04,0x04,0x8a,0x8d]

s_nor_b64 s[10:11], src_execz, s[4:5]
// CHECK: s_nor_b64 s[10:11], src_execz, s[4:5]   ; encoding: [0xfc,0x04,0x8a,0x8d]

s_nor_b64 s[10:11], src_scc, s[4:5]
// CHECK: s_nor_b64 s[10:11], src_scc, s[4:5]     ; encoding: [0xfd,0x04,0x8a,0x8d]

s_nor_b64 s[10:11], src_vccz, s[4:5]
// CHECK: s_nor_b64 s[10:11], src_vccz, s[4:5]    ; encoding: [0xfb,0x04,0x8a,0x8d]

s_nor_b64 s[10:11], tba, s[4:5]
// CHECK: s_nor_b64 s[10:11], tba, s[4:5]         ; encoding: [0x6c,0x04,0x8a,0x8d]

s_nor_b64 s[10:11], tma, s[4:5]
// CHECK: s_nor_b64 s[10:11], tma, s[4:5]         ; encoding: [0x6e,0x04,0x8a,0x8d]

s_nor_b64 s[10:11], ttmp[10:11], s[4:5]
// CHECK: s_nor_b64 s[10:11], ttmp[10:11], s[4:5] ; encoding: [0x7a,0x04,0x8a,0x8d]

s_nor_b64 s[10:11], vcc, s[4:5]
// CHECK: s_nor_b64 s[10:11], vcc, s[4:5]         ; encoding: [0x6a,0x04,0x8a,0x8d]

s_nor_b64 s[12:13], s[2:3], s[4:5]
// CHECK: s_nor_b64 s[12:13], s[2:3], s[4:5]      ; encoding: [0x02,0x04,0x8c,0x8d]

s_nor_b64 tba, s[2:3], s[4:5]
// CHECK: s_nor_b64 tba, s[2:3], s[4:5]           ; encoding: [0x02,0x04,0xec,0x8d]

s_nor_b64 tma, s[2:3], s[4:5]
// CHECK: s_nor_b64 tma, s[2:3], s[4:5]           ; encoding: [0x02,0x04,0xee,0x8d]

s_nor_b64 ttmp[10:11], s[2:3], s[4:5]
// CHECK: s_nor_b64 ttmp[10:11], s[2:3], s[4:5]   ; encoding: [0x02,0x04,0xfa,0x8d]

s_nor_b64 vcc, s[2:3], s[4:5]
// CHECK: s_nor_b64 vcc, s[2:3], s[4:5]           ; encoding: [0x02,0x04,0xea,0x8d]

s_or_b32 exec_hi, s1, s2
// CHECK: s_or_b32 exec_hi, s1, s2                ; encoding: [0x01,0x02,0x7f,0x88]

s_or_b32 exec_lo, s1, s2
// CHECK: s_or_b32 exec_lo, s1, s2                ; encoding: [0x01,0x02,0x7e,0x88]

s_or_b32 flat_scratch_hi, s1, s2
// CHECK: s_or_b32 flat_scratch_hi, s1, s2        ; encoding: [0x01,0x02,0x69,0x88]

s_or_b32 flat_scratch_lo, s1, s2
// CHECK: s_or_b32 flat_scratch_lo, s1, s2        ; encoding: [0x01,0x02,0x68,0x88]

s_or_b32 m0, s1, s2
// CHECK: s_or_b32 m0, s1, s2                     ; encoding: [0x01,0x02,0x7c,0x88]

s_or_b32 s103, s1, s2
// CHECK: s_or_b32 s103, s1, s2                   ; encoding: [0x01,0x02,0x67,0x88]

s_or_b32 s5, -1, s2
// CHECK: s_or_b32 s5, -1, s2                     ; encoding: [0xc1,0x02,0x05,0x88]

s_or_b32 s5, -4.0, s2
// CHECK: s_or_b32 s5, -4.0, s2                   ; encoding: [0xf7,0x02,0x05,0x88]

s_or_b32 s5, 0, s2
// CHECK: s_or_b32 s5, 0, s2                      ; encoding: [0x80,0x02,0x05,0x88]

s_or_b32 s5, 0.5, s2
// CHECK: s_or_b32 s5, 0.5, s2                    ; encoding: [0xf0,0x02,0x05,0x88]

s_or_b32 s5, 0x3f717273, s2
// CHECK: s_or_b32 s5, 0x3f717273, s2             ; encoding: [0xff,0x02,0x05,0x88,0x73,0x72,0x71,0x3f]

s_or_b32 s5, 0xaf123456, s2
// CHECK: s_or_b32 s5, 0xaf123456, s2             ; encoding: [0xff,0x02,0x05,0x88,0x56,0x34,0x12,0xaf]

s_or_b32 s5, exec_hi, s2
// CHECK: s_or_b32 s5, exec_hi, s2                ; encoding: [0x7f,0x02,0x05,0x88]

s_or_b32 s5, exec_lo, s2
// CHECK: s_or_b32 s5, exec_lo, s2                ; encoding: [0x7e,0x02,0x05,0x88]

s_or_b32 s5, flat_scratch_hi, s2
// CHECK: s_or_b32 s5, flat_scratch_hi, s2        ; encoding: [0x69,0x02,0x05,0x88]

s_or_b32 s5, flat_scratch_lo, s2
// CHECK: s_or_b32 s5, flat_scratch_lo, s2        ; encoding: [0x68,0x02,0x05,0x88]

s_or_b32 s5, m0, s2
// CHECK: s_or_b32 s5, m0, s2                     ; encoding: [0x7c,0x02,0x05,0x88]

s_or_b32 s5, s1, -1
// CHECK: s_or_b32 s5, s1, -1                     ; encoding: [0x01,0xc1,0x05,0x88]

s_or_b32 s5, s1, -4.0
// CHECK: s_or_b32 s5, s1, -4.0                   ; encoding: [0x01,0xf7,0x05,0x88]

s_or_b32 s5, s1, 0
// CHECK: s_or_b32 s5, s1, 0                      ; encoding: [0x01,0x80,0x05,0x88]

s_or_b32 s5, s1, 0.5
// CHECK: s_or_b32 s5, s1, 0.5                    ; encoding: [0x01,0xf0,0x05,0x88]

s_or_b32 s5, s1, 0x3f717273
// CHECK: s_or_b32 s5, s1, 0x3f717273             ; encoding: [0x01,0xff,0x05,0x88,0x73,0x72,0x71,0x3f]

s_or_b32 s5, s1, 0xaf123456
// CHECK: s_or_b32 s5, s1, 0xaf123456             ; encoding: [0x01,0xff,0x05,0x88,0x56,0x34,0x12,0xaf]

s_or_b32 s5, s1, exec_hi
// CHECK: s_or_b32 s5, s1, exec_hi                ; encoding: [0x01,0x7f,0x05,0x88]

s_or_b32 s5, s1, exec_lo
// CHECK: s_or_b32 s5, s1, exec_lo                ; encoding: [0x01,0x7e,0x05,0x88]

s_or_b32 s5, s1, flat_scratch_hi
// CHECK: s_or_b32 s5, s1, flat_scratch_hi        ; encoding: [0x01,0x69,0x05,0x88]

s_or_b32 s5, s1, flat_scratch_lo
// CHECK: s_or_b32 s5, s1, flat_scratch_lo        ; encoding: [0x01,0x68,0x05,0x88]

s_or_b32 s5, s1, m0
// CHECK: s_or_b32 s5, s1, m0                     ; encoding: [0x01,0x7c,0x05,0x88]

s_or_b32 s5, s1, s103
// CHECK: s_or_b32 s5, s1, s103                   ; encoding: [0x01,0x67,0x05,0x88]

s_or_b32 s5, s1, s2
// CHECK: s_or_b32 s5, s1, s2                     ; encoding: [0x01,0x02,0x05,0x88]

s_or_b32 s5, s1, src_execz
// CHECK: s_or_b32 s5, s1, src_execz              ; encoding: [0x01,0xfc,0x05,0x88]

s_or_b32 s5, s1, src_scc
// CHECK: s_or_b32 s5, s1, src_scc                ; encoding: [0x01,0xfd,0x05,0x88]

s_or_b32 s5, s1, src_vccz
// CHECK: s_or_b32 s5, s1, src_vccz               ; encoding: [0x01,0xfb,0x05,0x88]

s_or_b32 s5, s1, tba_hi
// CHECK: s_or_b32 s5, s1, tba_hi                 ; encoding: [0x01,0x6d,0x05,0x88]

s_or_b32 s5, s1, tba_lo
// CHECK: s_or_b32 s5, s1, tba_lo                 ; encoding: [0x01,0x6c,0x05,0x88]

s_or_b32 s5, s1, tma_hi
// CHECK: s_or_b32 s5, s1, tma_hi                 ; encoding: [0x01,0x6f,0x05,0x88]

s_or_b32 s5, s1, tma_lo
// CHECK: s_or_b32 s5, s1, tma_lo                 ; encoding: [0x01,0x6e,0x05,0x88]

s_or_b32 s5, s1, ttmp11
// CHECK: s_or_b32 s5, s1, ttmp11                 ; encoding: [0x01,0x7b,0x05,0x88]

s_or_b32 s5, s1, vcc_hi
// CHECK: s_or_b32 s5, s1, vcc_hi                 ; encoding: [0x01,0x6b,0x05,0x88]

s_or_b32 s5, s1, vcc_lo
// CHECK: s_or_b32 s5, s1, vcc_lo                 ; encoding: [0x01,0x6a,0x05,0x88]

s_or_b32 s5, s103, s2
// CHECK: s_or_b32 s5, s103, s2                   ; encoding: [0x67,0x02,0x05,0x88]

s_or_b32 s5, src_execz, s2
// CHECK: s_or_b32 s5, src_execz, s2              ; encoding: [0xfc,0x02,0x05,0x88]

s_or_b32 s5, src_scc, s2
// CHECK: s_or_b32 s5, src_scc, s2                ; encoding: [0xfd,0x02,0x05,0x88]

s_or_b32 s5, src_vccz, s2
// CHECK: s_or_b32 s5, src_vccz, s2               ; encoding: [0xfb,0x02,0x05,0x88]

s_or_b32 s5, tba_hi, s2
// CHECK: s_or_b32 s5, tba_hi, s2                 ; encoding: [0x6d,0x02,0x05,0x88]

s_or_b32 s5, tba_lo, s2
// CHECK: s_or_b32 s5, tba_lo, s2                 ; encoding: [0x6c,0x02,0x05,0x88]

s_or_b32 s5, tma_hi, s2
// CHECK: s_or_b32 s5, tma_hi, s2                 ; encoding: [0x6f,0x02,0x05,0x88]

s_or_b32 s5, tma_lo, s2
// CHECK: s_or_b32 s5, tma_lo, s2                 ; encoding: [0x6e,0x02,0x05,0x88]

s_or_b32 s5, ttmp11, s2
// CHECK: s_or_b32 s5, ttmp11, s2                 ; encoding: [0x7b,0x02,0x05,0x88]

s_or_b32 s5, vcc_hi, s2
// CHECK: s_or_b32 s5, vcc_hi, s2                 ; encoding: [0x6b,0x02,0x05,0x88]

s_or_b32 s5, vcc_lo, s2
// CHECK: s_or_b32 s5, vcc_lo, s2                 ; encoding: [0x6a,0x02,0x05,0x88]

s_or_b32 tba_hi, s1, s2
// CHECK: s_or_b32 tba_hi, s1, s2                 ; encoding: [0x01,0x02,0x6d,0x88]

s_or_b32 tba_lo, s1, s2
// CHECK: s_or_b32 tba_lo, s1, s2                 ; encoding: [0x01,0x02,0x6c,0x88]

s_or_b32 tma_hi, s1, s2
// CHECK: s_or_b32 tma_hi, s1, s2                 ; encoding: [0x01,0x02,0x6f,0x88]

s_or_b32 tma_lo, s1, s2
// CHECK: s_or_b32 tma_lo, s1, s2                 ; encoding: [0x01,0x02,0x6e,0x88]

s_or_b32 ttmp11, s1, s2
// CHECK: s_or_b32 ttmp11, s1, s2                 ; encoding: [0x01,0x02,0x7b,0x88]

s_or_b32 vcc_hi, s1, s2
// CHECK: s_or_b32 vcc_hi, s1, s2                 ; encoding: [0x01,0x02,0x6b,0x88]

s_or_b32 vcc_lo, s1, s2
// CHECK: s_or_b32 vcc_lo, s1, s2                 ; encoding: [0x01,0x02,0x6a,0x88]

s_or_b64 exec, s[2:3], s[4:5]
// CHECK: s_or_b64 exec, s[2:3], s[4:5]           ; encoding: [0x02,0x04,0xfe,0x88]

s_or_b64 flat_scratch, s[2:3], s[4:5]
// CHECK: s_or_b64 flat_scratch, s[2:3], s[4:5]   ; encoding: [0x02,0x04,0xe8,0x88]

s_or_b64 s[102:103], s[2:3], s[4:5]
// CHECK: s_or_b64 s[102:103], s[2:3], s[4:5]     ; encoding: [0x02,0x04,0xe6,0x88]

s_or_b64 s[10:11], -1, s[4:5]
// CHECK: s_or_b64 s[10:11], -1, s[4:5]           ; encoding: [0xc1,0x04,0x8a,0x88]

s_or_b64 s[10:11], -4.0, s[4:5]
// CHECK: s_or_b64 s[10:11], -4.0, s[4:5]         ; encoding: [0xf7,0x04,0x8a,0x88]

s_or_b64 s[10:11], 0, s[4:5]
// CHECK: s_or_b64 s[10:11], 0, s[4:5]            ; encoding: [0x80,0x04,0x8a,0x88]

s_or_b64 s[10:11], 0.5, s[4:5]
// CHECK: s_or_b64 s[10:11], 0.5, s[4:5]          ; encoding: [0xf0,0x04,0x8a,0x88]

s_or_b64 s[10:11], 0x3f717273, s[4:5]
// CHECK: s_or_b64 s[10:11], 0x3f717273, s[4:5]   ; encoding: [0xff,0x04,0x8a,0x88,0x73,0x72,0x71,0x3f]

s_or_b64 s[10:11], 0xaf123456, s[4:5]
// CHECK: s_or_b64 s[10:11], 0xaf123456, s[4:5]   ; encoding: [0xff,0x04,0x8a,0x88,0x56,0x34,0x12,0xaf]

s_or_b64 s[10:11], exec, s[4:5]
// CHECK: s_or_b64 s[10:11], exec, s[4:5]         ; encoding: [0x7e,0x04,0x8a,0x88]

s_or_b64 s[10:11], flat_scratch, s[4:5]
// CHECK: s_or_b64 s[10:11], flat_scratch, s[4:5] ; encoding: [0x68,0x04,0x8a,0x88]

s_or_b64 s[10:11], s[102:103], s[4:5]
// CHECK: s_or_b64 s[10:11], s[102:103], s[4:5]   ; encoding: [0x66,0x04,0x8a,0x88]

s_or_b64 s[10:11], s[2:3], -1
// CHECK: s_or_b64 s[10:11], s[2:3], -1           ; encoding: [0x02,0xc1,0x8a,0x88]

s_or_b64 s[10:11], s[2:3], -4.0
// CHECK: s_or_b64 s[10:11], s[2:3], -4.0         ; encoding: [0x02,0xf7,0x8a,0x88]

s_or_b64 s[10:11], s[2:3], 0
// CHECK: s_or_b64 s[10:11], s[2:3], 0            ; encoding: [0x02,0x80,0x8a,0x88]

s_or_b64 s[10:11], s[2:3], 0.5
// CHECK: s_or_b64 s[10:11], s[2:3], 0.5          ; encoding: [0x02,0xf0,0x8a,0x88]

s_or_b64 s[10:11], s[2:3], 0x3f717273
// CHECK: s_or_b64 s[10:11], s[2:3], 0x3f717273   ; encoding: [0x02,0xff,0x8a,0x88,0x73,0x72,0x71,0x3f]

s_or_b64 s[10:11], s[2:3], 0xaf123456
// CHECK: s_or_b64 s[10:11], s[2:3], 0xaf123456   ; encoding: [0x02,0xff,0x8a,0x88,0x56,0x34,0x12,0xaf]

s_or_b64 s[10:11], s[2:3], exec
// CHECK: s_or_b64 s[10:11], s[2:3], exec         ; encoding: [0x02,0x7e,0x8a,0x88]

s_or_b64 s[10:11], s[2:3], flat_scratch
// CHECK: s_or_b64 s[10:11], s[2:3], flat_scratch ; encoding: [0x02,0x68,0x8a,0x88]

s_or_b64 s[10:11], s[2:3], s[102:103]
// CHECK: s_or_b64 s[10:11], s[2:3], s[102:103]   ; encoding: [0x02,0x66,0x8a,0x88]

s_or_b64 s[10:11], s[2:3], s[4:5]
// CHECK: s_or_b64 s[10:11], s[2:3], s[4:5]       ; encoding: [0x02,0x04,0x8a,0x88]

s_or_b64 s[10:11], s[2:3], s[6:7]
// CHECK: s_or_b64 s[10:11], s[2:3], s[6:7]       ; encoding: [0x02,0x06,0x8a,0x88]

s_or_b64 s[10:11], s[2:3], src_execz
// CHECK: s_or_b64 s[10:11], s[2:3], src_execz    ; encoding: [0x02,0xfc,0x8a,0x88]

s_or_b64 s[10:11], s[2:3], src_scc
// CHECK: s_or_b64 s[10:11], s[2:3], src_scc      ; encoding: [0x02,0xfd,0x8a,0x88]

s_or_b64 s[10:11], s[2:3], src_vccz
// CHECK: s_or_b64 s[10:11], s[2:3], src_vccz     ; encoding: [0x02,0xfb,0x8a,0x88]

s_or_b64 s[10:11], s[2:3], tba
// CHECK: s_or_b64 s[10:11], s[2:3], tba          ; encoding: [0x02,0x6c,0x8a,0x88]

s_or_b64 s[10:11], s[2:3], tma
// CHECK: s_or_b64 s[10:11], s[2:3], tma          ; encoding: [0x02,0x6e,0x8a,0x88]

s_or_b64 s[10:11], s[2:3], ttmp[10:11]
// CHECK: s_or_b64 s[10:11], s[2:3], ttmp[10:11]  ; encoding: [0x02,0x7a,0x8a,0x88]

s_or_b64 s[10:11], s[2:3], vcc
// CHECK: s_or_b64 s[10:11], s[2:3], vcc          ; encoding: [0x02,0x6a,0x8a,0x88]

s_or_b64 s[10:11], s[4:5], s[4:5]
// CHECK: s_or_b64 s[10:11], s[4:5], s[4:5]       ; encoding: [0x04,0x04,0x8a,0x88]

s_or_b64 s[10:11], src_execz, s[4:5]
// CHECK: s_or_b64 s[10:11], src_execz, s[4:5]    ; encoding: [0xfc,0x04,0x8a,0x88]

s_or_b64 s[10:11], src_scc, s[4:5]
// CHECK: s_or_b64 s[10:11], src_scc, s[4:5]      ; encoding: [0xfd,0x04,0x8a,0x88]

s_or_b64 s[10:11], src_vccz, s[4:5]
// CHECK: s_or_b64 s[10:11], src_vccz, s[4:5]     ; encoding: [0xfb,0x04,0x8a,0x88]

s_or_b64 s[10:11], tba, s[4:5]
// CHECK: s_or_b64 s[10:11], tba, s[4:5]          ; encoding: [0x6c,0x04,0x8a,0x88]

s_or_b64 s[10:11], tma, s[4:5]
// CHECK: s_or_b64 s[10:11], tma, s[4:5]          ; encoding: [0x6e,0x04,0x8a,0x88]

s_or_b64 s[10:11], ttmp[10:11], s[4:5]
// CHECK: s_or_b64 s[10:11], ttmp[10:11], s[4:5]  ; encoding: [0x7a,0x04,0x8a,0x88]

s_or_b64 s[10:11], vcc, s[4:5]
// CHECK: s_or_b64 s[10:11], vcc, s[4:5]          ; encoding: [0x6a,0x04,0x8a,0x88]

s_or_b64 s[12:13], s[2:3], s[4:5]
// CHECK: s_or_b64 s[12:13], s[2:3], s[4:5]       ; encoding: [0x02,0x04,0x8c,0x88]

s_or_b64 tba, s[2:3], s[4:5]
// CHECK: s_or_b64 tba, s[2:3], s[4:5]            ; encoding: [0x02,0x04,0xec,0x88]

s_or_b64 tma, s[2:3], s[4:5]
// CHECK: s_or_b64 tma, s[2:3], s[4:5]            ; encoding: [0x02,0x04,0xee,0x88]

s_or_b64 ttmp[10:11], s[2:3], s[4:5]
// CHECK: s_or_b64 ttmp[10:11], s[2:3], s[4:5]    ; encoding: [0x02,0x04,0xfa,0x88]

s_or_b64 vcc, s[2:3], s[4:5]
// CHECK: s_or_b64 vcc, s[2:3], s[4:5]            ; encoding: [0x02,0x04,0xea,0x88]

s_orn2_b32 exec_hi, s1, s2
// CHECK: s_orn2_b32 exec_hi, s1, s2              ; encoding: [0x01,0x02,0x7f,0x8b]

s_orn2_b32 exec_lo, s1, s2
// CHECK: s_orn2_b32 exec_lo, s1, s2              ; encoding: [0x01,0x02,0x7e,0x8b]

s_orn2_b32 flat_scratch_hi, s1, s2
// CHECK: s_orn2_b32 flat_scratch_hi, s1, s2      ; encoding: [0x01,0x02,0x69,0x8b]

s_orn2_b32 flat_scratch_lo, s1, s2
// CHECK: s_orn2_b32 flat_scratch_lo, s1, s2      ; encoding: [0x01,0x02,0x68,0x8b]

s_orn2_b32 m0, s1, s2
// CHECK: s_orn2_b32 m0, s1, s2                   ; encoding: [0x01,0x02,0x7c,0x8b]

s_orn2_b32 s103, s1, s2
// CHECK: s_orn2_b32 s103, s1, s2                 ; encoding: [0x01,0x02,0x67,0x8b]

s_orn2_b32 s5, -1, s2
// CHECK: s_orn2_b32 s5, -1, s2                   ; encoding: [0xc1,0x02,0x05,0x8b]

s_orn2_b32 s5, -4.0, s2
// CHECK: s_orn2_b32 s5, -4.0, s2                 ; encoding: [0xf7,0x02,0x05,0x8b]

s_orn2_b32 s5, 0, s2
// CHECK: s_orn2_b32 s5, 0, s2                    ; encoding: [0x80,0x02,0x05,0x8b]

s_orn2_b32 s5, 0.5, s2
// CHECK: s_orn2_b32 s5, 0.5, s2                  ; encoding: [0xf0,0x02,0x05,0x8b]

s_orn2_b32 s5, 0x3f717273, s2
// CHECK: s_orn2_b32 s5, 0x3f717273, s2           ; encoding: [0xff,0x02,0x05,0x8b,0x73,0x72,0x71,0x3f]

s_orn2_b32 s5, 0xaf123456, s2
// CHECK: s_orn2_b32 s5, 0xaf123456, s2           ; encoding: [0xff,0x02,0x05,0x8b,0x56,0x34,0x12,0xaf]

s_orn2_b32 s5, exec_hi, s2
// CHECK: s_orn2_b32 s5, exec_hi, s2              ; encoding: [0x7f,0x02,0x05,0x8b]

s_orn2_b32 s5, exec_lo, s2
// CHECK: s_orn2_b32 s5, exec_lo, s2              ; encoding: [0x7e,0x02,0x05,0x8b]

s_orn2_b32 s5, flat_scratch_hi, s2
// CHECK: s_orn2_b32 s5, flat_scratch_hi, s2      ; encoding: [0x69,0x02,0x05,0x8b]

s_orn2_b32 s5, flat_scratch_lo, s2
// CHECK: s_orn2_b32 s5, flat_scratch_lo, s2      ; encoding: [0x68,0x02,0x05,0x8b]

s_orn2_b32 s5, m0, s2
// CHECK: s_orn2_b32 s5, m0, s2                   ; encoding: [0x7c,0x02,0x05,0x8b]

s_orn2_b32 s5, s1, -1
// CHECK: s_orn2_b32 s5, s1, -1                   ; encoding: [0x01,0xc1,0x05,0x8b]

s_orn2_b32 s5, s1, -4.0
// CHECK: s_orn2_b32 s5, s1, -4.0                 ; encoding: [0x01,0xf7,0x05,0x8b]

s_orn2_b32 s5, s1, 0
// CHECK: s_orn2_b32 s5, s1, 0                    ; encoding: [0x01,0x80,0x05,0x8b]

s_orn2_b32 s5, s1, 0.5
// CHECK: s_orn2_b32 s5, s1, 0.5                  ; encoding: [0x01,0xf0,0x05,0x8b]

s_orn2_b32 s5, s1, 0x3f717273
// CHECK: s_orn2_b32 s5, s1, 0x3f717273           ; encoding: [0x01,0xff,0x05,0x8b,0x73,0x72,0x71,0x3f]

s_orn2_b32 s5, s1, 0xaf123456
// CHECK: s_orn2_b32 s5, s1, 0xaf123456           ; encoding: [0x01,0xff,0x05,0x8b,0x56,0x34,0x12,0xaf]

s_orn2_b32 s5, s1, exec_hi
// CHECK: s_orn2_b32 s5, s1, exec_hi              ; encoding: [0x01,0x7f,0x05,0x8b]

s_orn2_b32 s5, s1, exec_lo
// CHECK: s_orn2_b32 s5, s1, exec_lo              ; encoding: [0x01,0x7e,0x05,0x8b]

s_orn2_b32 s5, s1, flat_scratch_hi
// CHECK: s_orn2_b32 s5, s1, flat_scratch_hi      ; encoding: [0x01,0x69,0x05,0x8b]

s_orn2_b32 s5, s1, flat_scratch_lo
// CHECK: s_orn2_b32 s5, s1, flat_scratch_lo      ; encoding: [0x01,0x68,0x05,0x8b]

s_orn2_b32 s5, s1, m0
// CHECK: s_orn2_b32 s5, s1, m0                   ; encoding: [0x01,0x7c,0x05,0x8b]

s_orn2_b32 s5, s1, s103
// CHECK: s_orn2_b32 s5, s1, s103                 ; encoding: [0x01,0x67,0x05,0x8b]

s_orn2_b32 s5, s1, s2
// CHECK: s_orn2_b32 s5, s1, s2                   ; encoding: [0x01,0x02,0x05,0x8b]

s_orn2_b32 s5, s1, src_execz
// CHECK: s_orn2_b32 s5, s1, src_execz            ; encoding: [0x01,0xfc,0x05,0x8b]

s_orn2_b32 s5, s1, src_scc
// CHECK: s_orn2_b32 s5, s1, src_scc              ; encoding: [0x01,0xfd,0x05,0x8b]

s_orn2_b32 s5, s1, src_vccz
// CHECK: s_orn2_b32 s5, s1, src_vccz             ; encoding: [0x01,0xfb,0x05,0x8b]

s_orn2_b32 s5, s1, tba_hi
// CHECK: s_orn2_b32 s5, s1, tba_hi               ; encoding: [0x01,0x6d,0x05,0x8b]

s_orn2_b32 s5, s1, tba_lo
// CHECK: s_orn2_b32 s5, s1, tba_lo               ; encoding: [0x01,0x6c,0x05,0x8b]

s_orn2_b32 s5, s1, tma_hi
// CHECK: s_orn2_b32 s5, s1, tma_hi               ; encoding: [0x01,0x6f,0x05,0x8b]

s_orn2_b32 s5, s1, tma_lo
// CHECK: s_orn2_b32 s5, s1, tma_lo               ; encoding: [0x01,0x6e,0x05,0x8b]

s_orn2_b32 s5, s1, ttmp11
// CHECK: s_orn2_b32 s5, s1, ttmp11               ; encoding: [0x01,0x7b,0x05,0x8b]

s_orn2_b32 s5, s1, vcc_hi
// CHECK: s_orn2_b32 s5, s1, vcc_hi               ; encoding: [0x01,0x6b,0x05,0x8b]

s_orn2_b32 s5, s1, vcc_lo
// CHECK: s_orn2_b32 s5, s1, vcc_lo               ; encoding: [0x01,0x6a,0x05,0x8b]

s_orn2_b32 s5, s103, s2
// CHECK: s_orn2_b32 s5, s103, s2                 ; encoding: [0x67,0x02,0x05,0x8b]

s_orn2_b32 s5, src_execz, s2
// CHECK: s_orn2_b32 s5, src_execz, s2            ; encoding: [0xfc,0x02,0x05,0x8b]

s_orn2_b32 s5, src_scc, s2
// CHECK: s_orn2_b32 s5, src_scc, s2              ; encoding: [0xfd,0x02,0x05,0x8b]

s_orn2_b32 s5, src_vccz, s2
// CHECK: s_orn2_b32 s5, src_vccz, s2             ; encoding: [0xfb,0x02,0x05,0x8b]

s_orn2_b32 s5, tba_hi, s2
// CHECK: s_orn2_b32 s5, tba_hi, s2               ; encoding: [0x6d,0x02,0x05,0x8b]

s_orn2_b32 s5, tba_lo, s2
// CHECK: s_orn2_b32 s5, tba_lo, s2               ; encoding: [0x6c,0x02,0x05,0x8b]

s_orn2_b32 s5, tma_hi, s2
// CHECK: s_orn2_b32 s5, tma_hi, s2               ; encoding: [0x6f,0x02,0x05,0x8b]

s_orn2_b32 s5, tma_lo, s2
// CHECK: s_orn2_b32 s5, tma_lo, s2               ; encoding: [0x6e,0x02,0x05,0x8b]

s_orn2_b32 s5, ttmp11, s2
// CHECK: s_orn2_b32 s5, ttmp11, s2               ; encoding: [0x7b,0x02,0x05,0x8b]

s_orn2_b32 s5, vcc_hi, s2
// CHECK: s_orn2_b32 s5, vcc_hi, s2               ; encoding: [0x6b,0x02,0x05,0x8b]

s_orn2_b32 s5, vcc_lo, s2
// CHECK: s_orn2_b32 s5, vcc_lo, s2               ; encoding: [0x6a,0x02,0x05,0x8b]

s_orn2_b32 tba_hi, s1, s2
// CHECK: s_orn2_b32 tba_hi, s1, s2               ; encoding: [0x01,0x02,0x6d,0x8b]

s_orn2_b32 tba_lo, s1, s2
// CHECK: s_orn2_b32 tba_lo, s1, s2               ; encoding: [0x01,0x02,0x6c,0x8b]

s_orn2_b32 tma_hi, s1, s2
// CHECK: s_orn2_b32 tma_hi, s1, s2               ; encoding: [0x01,0x02,0x6f,0x8b]

s_orn2_b32 tma_lo, s1, s2
// CHECK: s_orn2_b32 tma_lo, s1, s2               ; encoding: [0x01,0x02,0x6e,0x8b]

s_orn2_b32 ttmp11, s1, s2
// CHECK: s_orn2_b32 ttmp11, s1, s2               ; encoding: [0x01,0x02,0x7b,0x8b]

s_orn2_b32 vcc_hi, s1, s2
// CHECK: s_orn2_b32 vcc_hi, s1, s2               ; encoding: [0x01,0x02,0x6b,0x8b]

s_orn2_b32 vcc_lo, s1, s2
// CHECK: s_orn2_b32 vcc_lo, s1, s2               ; encoding: [0x01,0x02,0x6a,0x8b]

s_orn2_b64 exec, s[2:3], s[4:5]
// CHECK: s_orn2_b64 exec, s[2:3], s[4:5]         ; encoding: [0x02,0x04,0xfe,0x8b]

s_orn2_b64 flat_scratch, s[2:3], s[4:5]
// CHECK: s_orn2_b64 flat_scratch, s[2:3], s[4:5] ; encoding: [0x02,0x04,0xe8,0x8b]

s_orn2_b64 s[102:103], s[2:3], s[4:5]
// CHECK: s_orn2_b64 s[102:103], s[2:3], s[4:5]   ; encoding: [0x02,0x04,0xe6,0x8b]

s_orn2_b64 s[10:11], -1, s[4:5]
// CHECK: s_orn2_b64 s[10:11], -1, s[4:5]         ; encoding: [0xc1,0x04,0x8a,0x8b]

s_orn2_b64 s[10:11], -4.0, s[4:5]
// CHECK: s_orn2_b64 s[10:11], -4.0, s[4:5]       ; encoding: [0xf7,0x04,0x8a,0x8b]

s_orn2_b64 s[10:11], 0, s[4:5]
// CHECK: s_orn2_b64 s[10:11], 0, s[4:5]          ; encoding: [0x80,0x04,0x8a,0x8b]

s_orn2_b64 s[10:11], 0.5, s[4:5]
// CHECK: s_orn2_b64 s[10:11], 0.5, s[4:5]        ; encoding: [0xf0,0x04,0x8a,0x8b]

s_orn2_b64 s[10:11], 0x3f717273, s[4:5]
// CHECK: s_orn2_b64 s[10:11], 0x3f717273, s[4:5] ; encoding: [0xff,0x04,0x8a,0x8b,0x73,0x72,0x71,0x3f]

s_orn2_b64 s[10:11], 0xaf123456, s[4:5]
// CHECK: s_orn2_b64 s[10:11], 0xaf123456, s[4:5] ; encoding: [0xff,0x04,0x8a,0x8b,0x56,0x34,0x12,0xaf]

s_orn2_b64 s[10:11], exec, s[4:5]
// CHECK: s_orn2_b64 s[10:11], exec, s[4:5]       ; encoding: [0x7e,0x04,0x8a,0x8b]

s_orn2_b64 s[10:11], flat_scratch, s[4:5]
// CHECK: s_orn2_b64 s[10:11], flat_scratch, s[4:5] ; encoding: [0x68,0x04,0x8a,0x8b]

s_orn2_b64 s[10:11], s[102:103], s[4:5]
// CHECK: s_orn2_b64 s[10:11], s[102:103], s[4:5] ; encoding: [0x66,0x04,0x8a,0x8b]

s_orn2_b64 s[10:11], s[2:3], -1
// CHECK: s_orn2_b64 s[10:11], s[2:3], -1         ; encoding: [0x02,0xc1,0x8a,0x8b]

s_orn2_b64 s[10:11], s[2:3], -4.0
// CHECK: s_orn2_b64 s[10:11], s[2:3], -4.0       ; encoding: [0x02,0xf7,0x8a,0x8b]

s_orn2_b64 s[10:11], s[2:3], 0
// CHECK: s_orn2_b64 s[10:11], s[2:3], 0          ; encoding: [0x02,0x80,0x8a,0x8b]

s_orn2_b64 s[10:11], s[2:3], 0.5
// CHECK: s_orn2_b64 s[10:11], s[2:3], 0.5        ; encoding: [0x02,0xf0,0x8a,0x8b]

s_orn2_b64 s[10:11], s[2:3], 0x3f717273
// CHECK: s_orn2_b64 s[10:11], s[2:3], 0x3f717273 ; encoding: [0x02,0xff,0x8a,0x8b,0x73,0x72,0x71,0x3f]

s_orn2_b64 s[10:11], s[2:3], 0xaf123456
// CHECK: s_orn2_b64 s[10:11], s[2:3], 0xaf123456 ; encoding: [0x02,0xff,0x8a,0x8b,0x56,0x34,0x12,0xaf]

s_orn2_b64 s[10:11], s[2:3], exec
// CHECK: s_orn2_b64 s[10:11], s[2:3], exec       ; encoding: [0x02,0x7e,0x8a,0x8b]

s_orn2_b64 s[10:11], s[2:3], flat_scratch
// CHECK: s_orn2_b64 s[10:11], s[2:3], flat_scratch ; encoding: [0x02,0x68,0x8a,0x8b]

s_orn2_b64 s[10:11], s[2:3], s[102:103]
// CHECK: s_orn2_b64 s[10:11], s[2:3], s[102:103] ; encoding: [0x02,0x66,0x8a,0x8b]

s_orn2_b64 s[10:11], s[2:3], s[4:5]
// CHECK: s_orn2_b64 s[10:11], s[2:3], s[4:5]     ; encoding: [0x02,0x04,0x8a,0x8b]

s_orn2_b64 s[10:11], s[2:3], s[6:7]
// CHECK: s_orn2_b64 s[10:11], s[2:3], s[6:7]     ; encoding: [0x02,0x06,0x8a,0x8b]

s_orn2_b64 s[10:11], s[2:3], src_execz
// CHECK: s_orn2_b64 s[10:11], s[2:3], src_execz  ; encoding: [0x02,0xfc,0x8a,0x8b]

s_orn2_b64 s[10:11], s[2:3], src_scc
// CHECK: s_orn2_b64 s[10:11], s[2:3], src_scc    ; encoding: [0x02,0xfd,0x8a,0x8b]

s_orn2_b64 s[10:11], s[2:3], src_vccz
// CHECK: s_orn2_b64 s[10:11], s[2:3], src_vccz   ; encoding: [0x02,0xfb,0x8a,0x8b]

s_orn2_b64 s[10:11], s[2:3], tba
// CHECK: s_orn2_b64 s[10:11], s[2:3], tba        ; encoding: [0x02,0x6c,0x8a,0x8b]

s_orn2_b64 s[10:11], s[2:3], tma
// CHECK: s_orn2_b64 s[10:11], s[2:3], tma        ; encoding: [0x02,0x6e,0x8a,0x8b]

s_orn2_b64 s[10:11], s[2:3], ttmp[10:11]
// CHECK: s_orn2_b64 s[10:11], s[2:3], ttmp[10:11] ; encoding: [0x02,0x7a,0x8a,0x8b]

s_orn2_b64 s[10:11], s[2:3], vcc
// CHECK: s_orn2_b64 s[10:11], s[2:3], vcc        ; encoding: [0x02,0x6a,0x8a,0x8b]

s_orn2_b64 s[10:11], s[4:5], s[4:5]
// CHECK: s_orn2_b64 s[10:11], s[4:5], s[4:5]     ; encoding: [0x04,0x04,0x8a,0x8b]

s_orn2_b64 s[10:11], src_execz, s[4:5]
// CHECK: s_orn2_b64 s[10:11], src_execz, s[4:5]  ; encoding: [0xfc,0x04,0x8a,0x8b]

s_orn2_b64 s[10:11], src_scc, s[4:5]
// CHECK: s_orn2_b64 s[10:11], src_scc, s[4:5]    ; encoding: [0xfd,0x04,0x8a,0x8b]

s_orn2_b64 s[10:11], src_vccz, s[4:5]
// CHECK: s_orn2_b64 s[10:11], src_vccz, s[4:5]   ; encoding: [0xfb,0x04,0x8a,0x8b]

s_orn2_b64 s[10:11], tba, s[4:5]
// CHECK: s_orn2_b64 s[10:11], tba, s[4:5]        ; encoding: [0x6c,0x04,0x8a,0x8b]

s_orn2_b64 s[10:11], tma, s[4:5]
// CHECK: s_orn2_b64 s[10:11], tma, s[4:5]        ; encoding: [0x6e,0x04,0x8a,0x8b]

s_orn2_b64 s[10:11], ttmp[10:11], s[4:5]
// CHECK: s_orn2_b64 s[10:11], ttmp[10:11], s[4:5] ; encoding: [0x7a,0x04,0x8a,0x8b]

s_orn2_b64 s[10:11], vcc, s[4:5]
// CHECK: s_orn2_b64 s[10:11], vcc, s[4:5]        ; encoding: [0x6a,0x04,0x8a,0x8b]

s_orn2_b64 s[12:13], s[2:3], s[4:5]
// CHECK: s_orn2_b64 s[12:13], s[2:3], s[4:5]     ; encoding: [0x02,0x04,0x8c,0x8b]

s_orn2_b64 tba, s[2:3], s[4:5]
// CHECK: s_orn2_b64 tba, s[2:3], s[4:5]          ; encoding: [0x02,0x04,0xec,0x8b]

s_orn2_b64 tma, s[2:3], s[4:5]
// CHECK: s_orn2_b64 tma, s[2:3], s[4:5]          ; encoding: [0x02,0x04,0xee,0x8b]

s_orn2_b64 ttmp[10:11], s[2:3], s[4:5]
// CHECK: s_orn2_b64 ttmp[10:11], s[2:3], s[4:5]  ; encoding: [0x02,0x04,0xfa,0x8b]

s_orn2_b64 vcc, s[2:3], s[4:5]
// CHECK: s_orn2_b64 vcc, s[2:3], s[4:5]          ; encoding: [0x02,0x04,0xea,0x8b]

s_sub_i32 exec_hi, s1, s2
// CHECK: s_sub_i32 exec_hi, s1, s2               ; encoding: [0x01,0x02,0xff,0x81]

s_sub_i32 exec_lo, s1, s2
// CHECK: s_sub_i32 exec_lo, s1, s2               ; encoding: [0x01,0x02,0xfe,0x81]

s_sub_i32 flat_scratch_hi, s1, s2
// CHECK: s_sub_i32 flat_scratch_hi, s1, s2       ; encoding: [0x01,0x02,0xe9,0x81]

s_sub_i32 flat_scratch_lo, s1, s2
// CHECK: s_sub_i32 flat_scratch_lo, s1, s2       ; encoding: [0x01,0x02,0xe8,0x81]

s_sub_i32 m0, s1, s2
// CHECK: s_sub_i32 m0, s1, s2                    ; encoding: [0x01,0x02,0xfc,0x81]

s_sub_i32 s103, s1, s2
// CHECK: s_sub_i32 s103, s1, s2                  ; encoding: [0x01,0x02,0xe7,0x81]

s_sub_i32 s5, -1, s2
// CHECK: s_sub_i32 s5, -1, s2                    ; encoding: [0xc1,0x02,0x85,0x81]

s_sub_i32 s5, -4.0, s2
// CHECK: s_sub_i32 s5, -4.0, s2                  ; encoding: [0xf7,0x02,0x85,0x81]

s_sub_i32 s5, 0, s2
// CHECK: s_sub_i32 s5, 0, s2                     ; encoding: [0x80,0x02,0x85,0x81]

s_sub_i32 s5, 0.5, s2
// CHECK: s_sub_i32 s5, 0.5, s2                   ; encoding: [0xf0,0x02,0x85,0x81]

s_sub_i32 s5, 0x3f717273, s2
// CHECK: s_sub_i32 s5, 0x3f717273, s2            ; encoding: [0xff,0x02,0x85,0x81,0x73,0x72,0x71,0x3f]

s_sub_i32 s5, 0xaf123456, s2
// CHECK: s_sub_i32 s5, 0xaf123456, s2            ; encoding: [0xff,0x02,0x85,0x81,0x56,0x34,0x12,0xaf]

s_sub_i32 s5, exec_hi, s2
// CHECK: s_sub_i32 s5, exec_hi, s2               ; encoding: [0x7f,0x02,0x85,0x81]

s_sub_i32 s5, exec_lo, s2
// CHECK: s_sub_i32 s5, exec_lo, s2               ; encoding: [0x7e,0x02,0x85,0x81]

s_sub_i32 s5, flat_scratch_hi, s2
// CHECK: s_sub_i32 s5, flat_scratch_hi, s2       ; encoding: [0x69,0x02,0x85,0x81]

s_sub_i32 s5, flat_scratch_lo, s2
// CHECK: s_sub_i32 s5, flat_scratch_lo, s2       ; encoding: [0x68,0x02,0x85,0x81]

s_sub_i32 s5, m0, s2
// CHECK: s_sub_i32 s5, m0, s2                    ; encoding: [0x7c,0x02,0x85,0x81]

s_sub_i32 s5, s1, -1
// CHECK: s_sub_i32 s5, s1, -1                    ; encoding: [0x01,0xc1,0x85,0x81]

s_sub_i32 s5, s1, -4.0
// CHECK: s_sub_i32 s5, s1, -4.0                  ; encoding: [0x01,0xf7,0x85,0x81]

s_sub_i32 s5, s1, 0
// CHECK: s_sub_i32 s5, s1, 0                     ; encoding: [0x01,0x80,0x85,0x81]

s_sub_i32 s5, s1, 0.5
// CHECK: s_sub_i32 s5, s1, 0.5                   ; encoding: [0x01,0xf0,0x85,0x81]

s_sub_i32 s5, s1, 0x3f717273
// CHECK: s_sub_i32 s5, s1, 0x3f717273            ; encoding: [0x01,0xff,0x85,0x81,0x73,0x72,0x71,0x3f]

s_sub_i32 s5, s1, 0xaf123456
// CHECK: s_sub_i32 s5, s1, 0xaf123456            ; encoding: [0x01,0xff,0x85,0x81,0x56,0x34,0x12,0xaf]

s_sub_i32 s5, s1, exec_hi
// CHECK: s_sub_i32 s5, s1, exec_hi               ; encoding: [0x01,0x7f,0x85,0x81]

s_sub_i32 s5, s1, exec_lo
// CHECK: s_sub_i32 s5, s1, exec_lo               ; encoding: [0x01,0x7e,0x85,0x81]

s_sub_i32 s5, s1, flat_scratch_hi
// CHECK: s_sub_i32 s5, s1, flat_scratch_hi       ; encoding: [0x01,0x69,0x85,0x81]

s_sub_i32 s5, s1, flat_scratch_lo
// CHECK: s_sub_i32 s5, s1, flat_scratch_lo       ; encoding: [0x01,0x68,0x85,0x81]

s_sub_i32 s5, s1, m0
// CHECK: s_sub_i32 s5, s1, m0                    ; encoding: [0x01,0x7c,0x85,0x81]

s_sub_i32 s5, s1, s103
// CHECK: s_sub_i32 s5, s1, s103                  ; encoding: [0x01,0x67,0x85,0x81]

s_sub_i32 s5, s1, s2
// CHECK: s_sub_i32 s5, s1, s2                    ; encoding: [0x01,0x02,0x85,0x81]

s_sub_i32 s5, s1, src_execz
// CHECK: s_sub_i32 s5, s1, src_execz             ; encoding: [0x01,0xfc,0x85,0x81]

s_sub_i32 s5, s1, src_scc
// CHECK: s_sub_i32 s5, s1, src_scc               ; encoding: [0x01,0xfd,0x85,0x81]

s_sub_i32 s5, s1, src_vccz
// CHECK: s_sub_i32 s5, s1, src_vccz              ; encoding: [0x01,0xfb,0x85,0x81]

s_sub_i32 s5, s1, tba_hi
// CHECK: s_sub_i32 s5, s1, tba_hi                ; encoding: [0x01,0x6d,0x85,0x81]

s_sub_i32 s5, s1, tba_lo
// CHECK: s_sub_i32 s5, s1, tba_lo                ; encoding: [0x01,0x6c,0x85,0x81]

s_sub_i32 s5, s1, tma_hi
// CHECK: s_sub_i32 s5, s1, tma_hi                ; encoding: [0x01,0x6f,0x85,0x81]

s_sub_i32 s5, s1, tma_lo
// CHECK: s_sub_i32 s5, s1, tma_lo                ; encoding: [0x01,0x6e,0x85,0x81]

s_sub_i32 s5, s1, ttmp11
// CHECK: s_sub_i32 s5, s1, ttmp11                ; encoding: [0x01,0x7b,0x85,0x81]

s_sub_i32 s5, s1, vcc_hi
// CHECK: s_sub_i32 s5, s1, vcc_hi                ; encoding: [0x01,0x6b,0x85,0x81]

s_sub_i32 s5, s1, vcc_lo
// CHECK: s_sub_i32 s5, s1, vcc_lo                ; encoding: [0x01,0x6a,0x85,0x81]

s_sub_i32 s5, s103, s2
// CHECK: s_sub_i32 s5, s103, s2                  ; encoding: [0x67,0x02,0x85,0x81]

s_sub_i32 s5, src_execz, s2
// CHECK: s_sub_i32 s5, src_execz, s2             ; encoding: [0xfc,0x02,0x85,0x81]

s_sub_i32 s5, src_scc, s2
// CHECK: s_sub_i32 s5, src_scc, s2               ; encoding: [0xfd,0x02,0x85,0x81]

s_sub_i32 s5, src_vccz, s2
// CHECK: s_sub_i32 s5, src_vccz, s2              ; encoding: [0xfb,0x02,0x85,0x81]

s_sub_i32 s5, tba_hi, s2
// CHECK: s_sub_i32 s5, tba_hi, s2                ; encoding: [0x6d,0x02,0x85,0x81]

s_sub_i32 s5, tba_lo, s2
// CHECK: s_sub_i32 s5, tba_lo, s2                ; encoding: [0x6c,0x02,0x85,0x81]

s_sub_i32 s5, tma_hi, s2
// CHECK: s_sub_i32 s5, tma_hi, s2                ; encoding: [0x6f,0x02,0x85,0x81]

s_sub_i32 s5, tma_lo, s2
// CHECK: s_sub_i32 s5, tma_lo, s2                ; encoding: [0x6e,0x02,0x85,0x81]

s_sub_i32 s5, ttmp11, s2
// CHECK: s_sub_i32 s5, ttmp11, s2                ; encoding: [0x7b,0x02,0x85,0x81]

s_sub_i32 s5, vcc_hi, s2
// CHECK: s_sub_i32 s5, vcc_hi, s2                ; encoding: [0x6b,0x02,0x85,0x81]

s_sub_i32 s5, vcc_lo, s2
// CHECK: s_sub_i32 s5, vcc_lo, s2                ; encoding: [0x6a,0x02,0x85,0x81]

s_sub_i32 tba_hi, s1, s2
// CHECK: s_sub_i32 tba_hi, s1, s2                ; encoding: [0x01,0x02,0xed,0x81]

s_sub_i32 tba_lo, s1, s2
// CHECK: s_sub_i32 tba_lo, s1, s2                ; encoding: [0x01,0x02,0xec,0x81]

s_sub_i32 tma_hi, s1, s2
// CHECK: s_sub_i32 tma_hi, s1, s2                ; encoding: [0x01,0x02,0xef,0x81]

s_sub_i32 tma_lo, s1, s2
// CHECK: s_sub_i32 tma_lo, s1, s2                ; encoding: [0x01,0x02,0xee,0x81]

s_sub_i32 ttmp11, s1, s2
// CHECK: s_sub_i32 ttmp11, s1, s2                ; encoding: [0x01,0x02,0xfb,0x81]

s_sub_i32 vcc_hi, s1, s2
// CHECK: s_sub_i32 vcc_hi, s1, s2                ; encoding: [0x01,0x02,0xeb,0x81]

s_sub_i32 vcc_lo, s1, s2
// CHECK: s_sub_i32 vcc_lo, s1, s2                ; encoding: [0x01,0x02,0xea,0x81]

s_sub_u32 exec_hi, s1, s2
// CHECK: s_sub_u32 exec_hi, s1, s2               ; encoding: [0x01,0x02,0xff,0x80]

s_sub_u32 exec_lo, s1, s2
// CHECK: s_sub_u32 exec_lo, s1, s2               ; encoding: [0x01,0x02,0xfe,0x80]

s_sub_u32 flat_scratch_hi, s1, s2
// CHECK: s_sub_u32 flat_scratch_hi, s1, s2       ; encoding: [0x01,0x02,0xe9,0x80]

s_sub_u32 flat_scratch_lo, s1, s2
// CHECK: s_sub_u32 flat_scratch_lo, s1, s2       ; encoding: [0x01,0x02,0xe8,0x80]

s_sub_u32 m0, s1, s2
// CHECK: s_sub_u32 m0, s1, s2                    ; encoding: [0x01,0x02,0xfc,0x80]

s_sub_u32 s103, s1, s2
// CHECK: s_sub_u32 s103, s1, s2                  ; encoding: [0x01,0x02,0xe7,0x80]

s_sub_u32 s5, -1, s2
// CHECK: s_sub_u32 s5, -1, s2                    ; encoding: [0xc1,0x02,0x85,0x80]

s_sub_u32 s5, -4.0, s2
// CHECK: s_sub_u32 s5, -4.0, s2                  ; encoding: [0xf7,0x02,0x85,0x80]

s_sub_u32 s5, 0, s2
// CHECK: s_sub_u32 s5, 0, s2                     ; encoding: [0x80,0x02,0x85,0x80]

s_sub_u32 s5, 0.5, s2
// CHECK: s_sub_u32 s5, 0.5, s2                   ; encoding: [0xf0,0x02,0x85,0x80]

s_sub_u32 s5, 0x3f717273, s2
// CHECK: s_sub_u32 s5, 0x3f717273, s2            ; encoding: [0xff,0x02,0x85,0x80,0x73,0x72,0x71,0x3f]

s_sub_u32 s5, 0xaf123456, s2
// CHECK: s_sub_u32 s5, 0xaf123456, s2            ; encoding: [0xff,0x02,0x85,0x80,0x56,0x34,0x12,0xaf]

s_sub_u32 s5, exec_hi, s2
// CHECK: s_sub_u32 s5, exec_hi, s2               ; encoding: [0x7f,0x02,0x85,0x80]

s_sub_u32 s5, exec_lo, s2
// CHECK: s_sub_u32 s5, exec_lo, s2               ; encoding: [0x7e,0x02,0x85,0x80]

s_sub_u32 s5, flat_scratch_hi, s2
// CHECK: s_sub_u32 s5, flat_scratch_hi, s2       ; encoding: [0x69,0x02,0x85,0x80]

s_sub_u32 s5, flat_scratch_lo, s2
// CHECK: s_sub_u32 s5, flat_scratch_lo, s2       ; encoding: [0x68,0x02,0x85,0x80]

s_sub_u32 s5, m0, s2
// CHECK: s_sub_u32 s5, m0, s2                    ; encoding: [0x7c,0x02,0x85,0x80]

s_sub_u32 s5, s1, -1
// CHECK: s_sub_u32 s5, s1, -1                    ; encoding: [0x01,0xc1,0x85,0x80]

s_sub_u32 s5, s1, -4.0
// CHECK: s_sub_u32 s5, s1, -4.0                  ; encoding: [0x01,0xf7,0x85,0x80]

s_sub_u32 s5, s1, 0
// CHECK: s_sub_u32 s5, s1, 0                     ; encoding: [0x01,0x80,0x85,0x80]

s_sub_u32 s5, s1, 0.5
// CHECK: s_sub_u32 s5, s1, 0.5                   ; encoding: [0x01,0xf0,0x85,0x80]

s_sub_u32 s5, s1, 0x3f717273
// CHECK: s_sub_u32 s5, s1, 0x3f717273            ; encoding: [0x01,0xff,0x85,0x80,0x73,0x72,0x71,0x3f]

s_sub_u32 s5, s1, 0xaf123456
// CHECK: s_sub_u32 s5, s1, 0xaf123456            ; encoding: [0x01,0xff,0x85,0x80,0x56,0x34,0x12,0xaf]

s_sub_u32 s5, s1, exec_hi
// CHECK: s_sub_u32 s5, s1, exec_hi               ; encoding: [0x01,0x7f,0x85,0x80]

s_sub_u32 s5, s1, exec_lo
// CHECK: s_sub_u32 s5, s1, exec_lo               ; encoding: [0x01,0x7e,0x85,0x80]

s_sub_u32 s5, s1, flat_scratch_hi
// CHECK: s_sub_u32 s5, s1, flat_scratch_hi       ; encoding: [0x01,0x69,0x85,0x80]

s_sub_u32 s5, s1, flat_scratch_lo
// CHECK: s_sub_u32 s5, s1, flat_scratch_lo       ; encoding: [0x01,0x68,0x85,0x80]

s_sub_u32 s5, s1, m0
// CHECK: s_sub_u32 s5, s1, m0                    ; encoding: [0x01,0x7c,0x85,0x80]

s_sub_u32 s5, s1, s103
// CHECK: s_sub_u32 s5, s1, s103                  ; encoding: [0x01,0x67,0x85,0x80]

s_sub_u32 s5, s1, s2
// CHECK: s_sub_u32 s5, s1, s2                    ; encoding: [0x01,0x02,0x85,0x80]

s_sub_u32 s5, s1, src_execz
// CHECK: s_sub_u32 s5, s1, src_execz             ; encoding: [0x01,0xfc,0x85,0x80]

s_sub_u32 s5, s1, src_scc
// CHECK: s_sub_u32 s5, s1, src_scc               ; encoding: [0x01,0xfd,0x85,0x80]

s_sub_u32 s5, s1, src_vccz
// CHECK: s_sub_u32 s5, s1, src_vccz              ; encoding: [0x01,0xfb,0x85,0x80]

s_sub_u32 s5, s1, tba_hi
// CHECK: s_sub_u32 s5, s1, tba_hi                ; encoding: [0x01,0x6d,0x85,0x80]

s_sub_u32 s5, s1, tba_lo
// CHECK: s_sub_u32 s5, s1, tba_lo                ; encoding: [0x01,0x6c,0x85,0x80]

s_sub_u32 s5, s1, tma_hi
// CHECK: s_sub_u32 s5, s1, tma_hi                ; encoding: [0x01,0x6f,0x85,0x80]

s_sub_u32 s5, s1, tma_lo
// CHECK: s_sub_u32 s5, s1, tma_lo                ; encoding: [0x01,0x6e,0x85,0x80]

s_sub_u32 s5, s1, ttmp11
// CHECK: s_sub_u32 s5, s1, ttmp11                ; encoding: [0x01,0x7b,0x85,0x80]

s_sub_u32 s5, s1, vcc_hi
// CHECK: s_sub_u32 s5, s1, vcc_hi                ; encoding: [0x01,0x6b,0x85,0x80]

s_sub_u32 s5, s1, vcc_lo
// CHECK: s_sub_u32 s5, s1, vcc_lo                ; encoding: [0x01,0x6a,0x85,0x80]

s_sub_u32 s5, s103, s2
// CHECK: s_sub_u32 s5, s103, s2                  ; encoding: [0x67,0x02,0x85,0x80]

s_sub_u32 s5, src_execz, s2
// CHECK: s_sub_u32 s5, src_execz, s2             ; encoding: [0xfc,0x02,0x85,0x80]

s_sub_u32 s5, src_scc, s2
// CHECK: s_sub_u32 s5, src_scc, s2               ; encoding: [0xfd,0x02,0x85,0x80]

s_sub_u32 s5, src_vccz, s2
// CHECK: s_sub_u32 s5, src_vccz, s2              ; encoding: [0xfb,0x02,0x85,0x80]

s_sub_u32 s5, tba_hi, s2
// CHECK: s_sub_u32 s5, tba_hi, s2                ; encoding: [0x6d,0x02,0x85,0x80]

s_sub_u32 s5, tba_lo, s2
// CHECK: s_sub_u32 s5, tba_lo, s2                ; encoding: [0x6c,0x02,0x85,0x80]

s_sub_u32 s5, tma_hi, s2
// CHECK: s_sub_u32 s5, tma_hi, s2                ; encoding: [0x6f,0x02,0x85,0x80]

s_sub_u32 s5, tma_lo, s2
// CHECK: s_sub_u32 s5, tma_lo, s2                ; encoding: [0x6e,0x02,0x85,0x80]

s_sub_u32 s5, ttmp11, s2
// CHECK: s_sub_u32 s5, ttmp11, s2                ; encoding: [0x7b,0x02,0x85,0x80]

s_sub_u32 s5, vcc_hi, s2
// CHECK: s_sub_u32 s5, vcc_hi, s2                ; encoding: [0x6b,0x02,0x85,0x80]

s_sub_u32 s5, vcc_lo, s2
// CHECK: s_sub_u32 s5, vcc_lo, s2                ; encoding: [0x6a,0x02,0x85,0x80]

s_sub_u32 tba_hi, s1, s2
// CHECK: s_sub_u32 tba_hi, s1, s2                ; encoding: [0x01,0x02,0xed,0x80]

s_sub_u32 tba_lo, s1, s2
// CHECK: s_sub_u32 tba_lo, s1, s2                ; encoding: [0x01,0x02,0xec,0x80]

s_sub_u32 tma_hi, s1, s2
// CHECK: s_sub_u32 tma_hi, s1, s2                ; encoding: [0x01,0x02,0xef,0x80]

s_sub_u32 tma_lo, s1, s2
// CHECK: s_sub_u32 tma_lo, s1, s2                ; encoding: [0x01,0x02,0xee,0x80]

s_sub_u32 ttmp11, s1, s2
// CHECK: s_sub_u32 ttmp11, s1, s2                ; encoding: [0x01,0x02,0xfb,0x80]

s_sub_u32 vcc_hi, s1, s2
// CHECK: s_sub_u32 vcc_hi, s1, s2                ; encoding: [0x01,0x02,0xeb,0x80]

s_sub_u32 vcc_lo, s1, s2
// CHECK: s_sub_u32 vcc_lo, s1, s2                ; encoding: [0x01,0x02,0xea,0x80]

s_subb_u32 exec_hi, s1, s2
// CHECK: s_subb_u32 exec_hi, s1, s2              ; encoding: [0x01,0x02,0xff,0x82]

s_subb_u32 exec_lo, s1, s2
// CHECK: s_subb_u32 exec_lo, s1, s2              ; encoding: [0x01,0x02,0xfe,0x82]

s_subb_u32 flat_scratch_hi, s1, s2
// CHECK: s_subb_u32 flat_scratch_hi, s1, s2      ; encoding: [0x01,0x02,0xe9,0x82]

s_subb_u32 flat_scratch_lo, s1, s2
// CHECK: s_subb_u32 flat_scratch_lo, s1, s2      ; encoding: [0x01,0x02,0xe8,0x82]

s_subb_u32 m0, s1, s2
// CHECK: s_subb_u32 m0, s1, s2                   ; encoding: [0x01,0x02,0xfc,0x82]

s_subb_u32 s103, s1, s2
// CHECK: s_subb_u32 s103, s1, s2                 ; encoding: [0x01,0x02,0xe7,0x82]

s_subb_u32 s5, -1, s2
// CHECK: s_subb_u32 s5, -1, s2                   ; encoding: [0xc1,0x02,0x85,0x82]

s_subb_u32 s5, -4.0, s2
// CHECK: s_subb_u32 s5, -4.0, s2                 ; encoding: [0xf7,0x02,0x85,0x82]

s_subb_u32 s5, 0, s2
// CHECK: s_subb_u32 s5, 0, s2                    ; encoding: [0x80,0x02,0x85,0x82]

s_subb_u32 s5, 0.5, s2
// CHECK: s_subb_u32 s5, 0.5, s2                  ; encoding: [0xf0,0x02,0x85,0x82]

s_subb_u32 s5, 0x3f717273, s2
// CHECK: s_subb_u32 s5, 0x3f717273, s2           ; encoding: [0xff,0x02,0x85,0x82,0x73,0x72,0x71,0x3f]

s_subb_u32 s5, 0xaf123456, s2
// CHECK: s_subb_u32 s5, 0xaf123456, s2           ; encoding: [0xff,0x02,0x85,0x82,0x56,0x34,0x12,0xaf]

s_subb_u32 s5, exec_hi, s2
// CHECK: s_subb_u32 s5, exec_hi, s2              ; encoding: [0x7f,0x02,0x85,0x82]

s_subb_u32 s5, exec_lo, s2
// CHECK: s_subb_u32 s5, exec_lo, s2              ; encoding: [0x7e,0x02,0x85,0x82]

s_subb_u32 s5, flat_scratch_hi, s2
// CHECK: s_subb_u32 s5, flat_scratch_hi, s2      ; encoding: [0x69,0x02,0x85,0x82]

s_subb_u32 s5, flat_scratch_lo, s2
// CHECK: s_subb_u32 s5, flat_scratch_lo, s2      ; encoding: [0x68,0x02,0x85,0x82]

s_subb_u32 s5, m0, s2
// CHECK: s_subb_u32 s5, m0, s2                   ; encoding: [0x7c,0x02,0x85,0x82]

s_subb_u32 s5, s1, -1
// CHECK: s_subb_u32 s5, s1, -1                   ; encoding: [0x01,0xc1,0x85,0x82]

s_subb_u32 s5, s1, -4.0
// CHECK: s_subb_u32 s5, s1, -4.0                 ; encoding: [0x01,0xf7,0x85,0x82]

s_subb_u32 s5, s1, 0
// CHECK: s_subb_u32 s5, s1, 0                    ; encoding: [0x01,0x80,0x85,0x82]

s_subb_u32 s5, s1, 0.5
// CHECK: s_subb_u32 s5, s1, 0.5                  ; encoding: [0x01,0xf0,0x85,0x82]

s_subb_u32 s5, s1, 0x3f717273
// CHECK: s_subb_u32 s5, s1, 0x3f717273           ; encoding: [0x01,0xff,0x85,0x82,0x73,0x72,0x71,0x3f]

s_subb_u32 s5, s1, 0xaf123456
// CHECK: s_subb_u32 s5, s1, 0xaf123456           ; encoding: [0x01,0xff,0x85,0x82,0x56,0x34,0x12,0xaf]

s_subb_u32 s5, s1, exec_hi
// CHECK: s_subb_u32 s5, s1, exec_hi              ; encoding: [0x01,0x7f,0x85,0x82]

s_subb_u32 s5, s1, exec_lo
// CHECK: s_subb_u32 s5, s1, exec_lo              ; encoding: [0x01,0x7e,0x85,0x82]

s_subb_u32 s5, s1, flat_scratch_hi
// CHECK: s_subb_u32 s5, s1, flat_scratch_hi      ; encoding: [0x01,0x69,0x85,0x82]

s_subb_u32 s5, s1, flat_scratch_lo
// CHECK: s_subb_u32 s5, s1, flat_scratch_lo      ; encoding: [0x01,0x68,0x85,0x82]

s_subb_u32 s5, s1, m0
// CHECK: s_subb_u32 s5, s1, m0                   ; encoding: [0x01,0x7c,0x85,0x82]

s_subb_u32 s5, s1, s103
// CHECK: s_subb_u32 s5, s1, s103                 ; encoding: [0x01,0x67,0x85,0x82]

s_subb_u32 s5, s1, s2
// CHECK: s_subb_u32 s5, s1, s2                   ; encoding: [0x01,0x02,0x85,0x82]

s_subb_u32 s5, s1, src_execz
// CHECK: s_subb_u32 s5, s1, src_execz            ; encoding: [0x01,0xfc,0x85,0x82]

s_subb_u32 s5, s1, src_scc
// CHECK: s_subb_u32 s5, s1, src_scc              ; encoding: [0x01,0xfd,0x85,0x82]

s_subb_u32 s5, s1, src_vccz
// CHECK: s_subb_u32 s5, s1, src_vccz             ; encoding: [0x01,0xfb,0x85,0x82]

s_subb_u32 s5, s1, tba_hi
// CHECK: s_subb_u32 s5, s1, tba_hi               ; encoding: [0x01,0x6d,0x85,0x82]

s_subb_u32 s5, s1, tba_lo
// CHECK: s_subb_u32 s5, s1, tba_lo               ; encoding: [0x01,0x6c,0x85,0x82]

s_subb_u32 s5, s1, tma_hi
// CHECK: s_subb_u32 s5, s1, tma_hi               ; encoding: [0x01,0x6f,0x85,0x82]

s_subb_u32 s5, s1, tma_lo
// CHECK: s_subb_u32 s5, s1, tma_lo               ; encoding: [0x01,0x6e,0x85,0x82]

s_subb_u32 s5, s1, ttmp11
// CHECK: s_subb_u32 s5, s1, ttmp11               ; encoding: [0x01,0x7b,0x85,0x82]

s_subb_u32 s5, s1, vcc_hi
// CHECK: s_subb_u32 s5, s1, vcc_hi               ; encoding: [0x01,0x6b,0x85,0x82]

s_subb_u32 s5, s1, vcc_lo
// CHECK: s_subb_u32 s5, s1, vcc_lo               ; encoding: [0x01,0x6a,0x85,0x82]

s_subb_u32 s5, s103, s2
// CHECK: s_subb_u32 s5, s103, s2                 ; encoding: [0x67,0x02,0x85,0x82]

s_subb_u32 s5, src_execz, s2
// CHECK: s_subb_u32 s5, src_execz, s2            ; encoding: [0xfc,0x02,0x85,0x82]

s_subb_u32 s5, src_scc, s2
// CHECK: s_subb_u32 s5, src_scc, s2              ; encoding: [0xfd,0x02,0x85,0x82]

s_subb_u32 s5, src_vccz, s2
// CHECK: s_subb_u32 s5, src_vccz, s2             ; encoding: [0xfb,0x02,0x85,0x82]

s_subb_u32 s5, tba_hi, s2
// CHECK: s_subb_u32 s5, tba_hi, s2               ; encoding: [0x6d,0x02,0x85,0x82]

s_subb_u32 s5, tba_lo, s2
// CHECK: s_subb_u32 s5, tba_lo, s2               ; encoding: [0x6c,0x02,0x85,0x82]

s_subb_u32 s5, tma_hi, s2
// CHECK: s_subb_u32 s5, tma_hi, s2               ; encoding: [0x6f,0x02,0x85,0x82]

s_subb_u32 s5, tma_lo, s2
// CHECK: s_subb_u32 s5, tma_lo, s2               ; encoding: [0x6e,0x02,0x85,0x82]

s_subb_u32 s5, ttmp11, s2
// CHECK: s_subb_u32 s5, ttmp11, s2               ; encoding: [0x7b,0x02,0x85,0x82]

s_subb_u32 s5, vcc_hi, s2
// CHECK: s_subb_u32 s5, vcc_hi, s2               ; encoding: [0x6b,0x02,0x85,0x82]

s_subb_u32 s5, vcc_lo, s2
// CHECK: s_subb_u32 s5, vcc_lo, s2               ; encoding: [0x6a,0x02,0x85,0x82]

s_subb_u32 tba_hi, s1, s2
// CHECK: s_subb_u32 tba_hi, s1, s2               ; encoding: [0x01,0x02,0xed,0x82]

s_subb_u32 tba_lo, s1, s2
// CHECK: s_subb_u32 tba_lo, s1, s2               ; encoding: [0x01,0x02,0xec,0x82]

s_subb_u32 tma_hi, s1, s2
// CHECK: s_subb_u32 tma_hi, s1, s2               ; encoding: [0x01,0x02,0xef,0x82]

s_subb_u32 tma_lo, s1, s2
// CHECK: s_subb_u32 tma_lo, s1, s2               ; encoding: [0x01,0x02,0xee,0x82]

s_subb_u32 ttmp11, s1, s2
// CHECK: s_subb_u32 ttmp11, s1, s2               ; encoding: [0x01,0x02,0xfb,0x82]

s_subb_u32 vcc_hi, s1, s2
// CHECK: s_subb_u32 vcc_hi, s1, s2               ; encoding: [0x01,0x02,0xeb,0x82]

s_subb_u32 vcc_lo, s1, s2
// CHECK: s_subb_u32 vcc_lo, s1, s2               ; encoding: [0x01,0x02,0xea,0x82]

s_xnor_b32 exec_hi, s1, s2
// CHECK: s_xnor_b32 exec_hi, s1, s2              ; encoding: [0x01,0x02,0x7f,0x8e]

s_xnor_b32 exec_lo, s1, s2
// CHECK: s_xnor_b32 exec_lo, s1, s2              ; encoding: [0x01,0x02,0x7e,0x8e]

s_xnor_b32 flat_scratch_hi, s1, s2
// CHECK: s_xnor_b32 flat_scratch_hi, s1, s2      ; encoding: [0x01,0x02,0x69,0x8e]

s_xnor_b32 flat_scratch_lo, s1, s2
// CHECK: s_xnor_b32 flat_scratch_lo, s1, s2      ; encoding: [0x01,0x02,0x68,0x8e]

s_xnor_b32 m0, s1, s2
// CHECK: s_xnor_b32 m0, s1, s2                   ; encoding: [0x01,0x02,0x7c,0x8e]

s_xnor_b32 s103, s1, s2
// CHECK: s_xnor_b32 s103, s1, s2                 ; encoding: [0x01,0x02,0x67,0x8e]

s_xnor_b32 s5, -1, s2
// CHECK: s_xnor_b32 s5, -1, s2                   ; encoding: [0xc1,0x02,0x05,0x8e]

s_xnor_b32 s5, -4.0, s2
// CHECK: s_xnor_b32 s5, -4.0, s2                 ; encoding: [0xf7,0x02,0x05,0x8e]

s_xnor_b32 s5, 0, s2
// CHECK: s_xnor_b32 s5, 0, s2                    ; encoding: [0x80,0x02,0x05,0x8e]

s_xnor_b32 s5, 0.5, s2
// CHECK: s_xnor_b32 s5, 0.5, s2                  ; encoding: [0xf0,0x02,0x05,0x8e]

s_xnor_b32 s5, 0x3f717273, s2
// CHECK: s_xnor_b32 s5, 0x3f717273, s2           ; encoding: [0xff,0x02,0x05,0x8e,0x73,0x72,0x71,0x3f]

s_xnor_b32 s5, 0xaf123456, s2
// CHECK: s_xnor_b32 s5, 0xaf123456, s2           ; encoding: [0xff,0x02,0x05,0x8e,0x56,0x34,0x12,0xaf]

s_xnor_b32 s5, exec_hi, s2
// CHECK: s_xnor_b32 s5, exec_hi, s2              ; encoding: [0x7f,0x02,0x05,0x8e]

s_xnor_b32 s5, exec_lo, s2
// CHECK: s_xnor_b32 s5, exec_lo, s2              ; encoding: [0x7e,0x02,0x05,0x8e]

s_xnor_b32 s5, flat_scratch_hi, s2
// CHECK: s_xnor_b32 s5, flat_scratch_hi, s2      ; encoding: [0x69,0x02,0x05,0x8e]

s_xnor_b32 s5, flat_scratch_lo, s2
// CHECK: s_xnor_b32 s5, flat_scratch_lo, s2      ; encoding: [0x68,0x02,0x05,0x8e]

s_xnor_b32 s5, m0, s2
// CHECK: s_xnor_b32 s5, m0, s2                   ; encoding: [0x7c,0x02,0x05,0x8e]

s_xnor_b32 s5, s1, -1
// CHECK: s_xnor_b32 s5, s1, -1                   ; encoding: [0x01,0xc1,0x05,0x8e]

s_xnor_b32 s5, s1, -4.0
// CHECK: s_xnor_b32 s5, s1, -4.0                 ; encoding: [0x01,0xf7,0x05,0x8e]

s_xnor_b32 s5, s1, 0
// CHECK: s_xnor_b32 s5, s1, 0                    ; encoding: [0x01,0x80,0x05,0x8e]

s_xnor_b32 s5, s1, 0.5
// CHECK: s_xnor_b32 s5, s1, 0.5                  ; encoding: [0x01,0xf0,0x05,0x8e]

s_xnor_b32 s5, s1, 0x3f717273
// CHECK: s_xnor_b32 s5, s1, 0x3f717273           ; encoding: [0x01,0xff,0x05,0x8e,0x73,0x72,0x71,0x3f]

s_xnor_b32 s5, s1, 0xaf123456
// CHECK: s_xnor_b32 s5, s1, 0xaf123456           ; encoding: [0x01,0xff,0x05,0x8e,0x56,0x34,0x12,0xaf]

s_xnor_b32 s5, s1, exec_hi
// CHECK: s_xnor_b32 s5, s1, exec_hi              ; encoding: [0x01,0x7f,0x05,0x8e]

s_xnor_b32 s5, s1, exec_lo
// CHECK: s_xnor_b32 s5, s1, exec_lo              ; encoding: [0x01,0x7e,0x05,0x8e]

s_xnor_b32 s5, s1, flat_scratch_hi
// CHECK: s_xnor_b32 s5, s1, flat_scratch_hi      ; encoding: [0x01,0x69,0x05,0x8e]

s_xnor_b32 s5, s1, flat_scratch_lo
// CHECK: s_xnor_b32 s5, s1, flat_scratch_lo      ; encoding: [0x01,0x68,0x05,0x8e]

s_xnor_b32 s5, s1, m0
// CHECK: s_xnor_b32 s5, s1, m0                   ; encoding: [0x01,0x7c,0x05,0x8e]

s_xnor_b32 s5, s1, s103
// CHECK: s_xnor_b32 s5, s1, s103                 ; encoding: [0x01,0x67,0x05,0x8e]

s_xnor_b32 s5, s1, s2
// CHECK: s_xnor_b32 s5, s1, s2                   ; encoding: [0x01,0x02,0x05,0x8e]

s_xnor_b32 s5, s1, src_execz
// CHECK: s_xnor_b32 s5, s1, src_execz            ; encoding: [0x01,0xfc,0x05,0x8e]

s_xnor_b32 s5, s1, src_scc
// CHECK: s_xnor_b32 s5, s1, src_scc              ; encoding: [0x01,0xfd,0x05,0x8e]

s_xnor_b32 s5, s1, src_vccz
// CHECK: s_xnor_b32 s5, s1, src_vccz             ; encoding: [0x01,0xfb,0x05,0x8e]

s_xnor_b32 s5, s1, tba_hi
// CHECK: s_xnor_b32 s5, s1, tba_hi               ; encoding: [0x01,0x6d,0x05,0x8e]

s_xnor_b32 s5, s1, tba_lo
// CHECK: s_xnor_b32 s5, s1, tba_lo               ; encoding: [0x01,0x6c,0x05,0x8e]

s_xnor_b32 s5, s1, tma_hi
// CHECK: s_xnor_b32 s5, s1, tma_hi               ; encoding: [0x01,0x6f,0x05,0x8e]

s_xnor_b32 s5, s1, tma_lo
// CHECK: s_xnor_b32 s5, s1, tma_lo               ; encoding: [0x01,0x6e,0x05,0x8e]

s_xnor_b32 s5, s1, ttmp11
// CHECK: s_xnor_b32 s5, s1, ttmp11               ; encoding: [0x01,0x7b,0x05,0x8e]

s_xnor_b32 s5, s1, vcc_hi
// CHECK: s_xnor_b32 s5, s1, vcc_hi               ; encoding: [0x01,0x6b,0x05,0x8e]

s_xnor_b32 s5, s1, vcc_lo
// CHECK: s_xnor_b32 s5, s1, vcc_lo               ; encoding: [0x01,0x6a,0x05,0x8e]

s_xnor_b32 s5, s103, s2
// CHECK: s_xnor_b32 s5, s103, s2                 ; encoding: [0x67,0x02,0x05,0x8e]

s_xnor_b32 s5, src_execz, s2
// CHECK: s_xnor_b32 s5, src_execz, s2            ; encoding: [0xfc,0x02,0x05,0x8e]

s_xnor_b32 s5, src_scc, s2
// CHECK: s_xnor_b32 s5, src_scc, s2              ; encoding: [0xfd,0x02,0x05,0x8e]

s_xnor_b32 s5, src_vccz, s2
// CHECK: s_xnor_b32 s5, src_vccz, s2             ; encoding: [0xfb,0x02,0x05,0x8e]

s_xnor_b32 s5, tba_hi, s2
// CHECK: s_xnor_b32 s5, tba_hi, s2               ; encoding: [0x6d,0x02,0x05,0x8e]

s_xnor_b32 s5, tba_lo, s2
// CHECK: s_xnor_b32 s5, tba_lo, s2               ; encoding: [0x6c,0x02,0x05,0x8e]

s_xnor_b32 s5, tma_hi, s2
// CHECK: s_xnor_b32 s5, tma_hi, s2               ; encoding: [0x6f,0x02,0x05,0x8e]

s_xnor_b32 s5, tma_lo, s2
// CHECK: s_xnor_b32 s5, tma_lo, s2               ; encoding: [0x6e,0x02,0x05,0x8e]

s_xnor_b32 s5, ttmp11, s2
// CHECK: s_xnor_b32 s5, ttmp11, s2               ; encoding: [0x7b,0x02,0x05,0x8e]

s_xnor_b32 s5, vcc_hi, s2
// CHECK: s_xnor_b32 s5, vcc_hi, s2               ; encoding: [0x6b,0x02,0x05,0x8e]

s_xnor_b32 s5, vcc_lo, s2
// CHECK: s_xnor_b32 s5, vcc_lo, s2               ; encoding: [0x6a,0x02,0x05,0x8e]

s_xnor_b32 tba_hi, s1, s2
// CHECK: s_xnor_b32 tba_hi, s1, s2               ; encoding: [0x01,0x02,0x6d,0x8e]

s_xnor_b32 tba_lo, s1, s2
// CHECK: s_xnor_b32 tba_lo, s1, s2               ; encoding: [0x01,0x02,0x6c,0x8e]

s_xnor_b32 tma_hi, s1, s2
// CHECK: s_xnor_b32 tma_hi, s1, s2               ; encoding: [0x01,0x02,0x6f,0x8e]

s_xnor_b32 tma_lo, s1, s2
// CHECK: s_xnor_b32 tma_lo, s1, s2               ; encoding: [0x01,0x02,0x6e,0x8e]

s_xnor_b32 ttmp11, s1, s2
// CHECK: s_xnor_b32 ttmp11, s1, s2               ; encoding: [0x01,0x02,0x7b,0x8e]

s_xnor_b32 vcc_hi, s1, s2
// CHECK: s_xnor_b32 vcc_hi, s1, s2               ; encoding: [0x01,0x02,0x6b,0x8e]

s_xnor_b32 vcc_lo, s1, s2
// CHECK: s_xnor_b32 vcc_lo, s1, s2               ; encoding: [0x01,0x02,0x6a,0x8e]

s_xnor_b64 exec, s[2:3], s[4:5]
// CHECK: s_xnor_b64 exec, s[2:3], s[4:5]         ; encoding: [0x02,0x04,0xfe,0x8e]

s_xnor_b64 flat_scratch, s[2:3], s[4:5]
// CHECK: s_xnor_b64 flat_scratch, s[2:3], s[4:5] ; encoding: [0x02,0x04,0xe8,0x8e]

s_xnor_b64 s[102:103], s[2:3], s[4:5]
// CHECK: s_xnor_b64 s[102:103], s[2:3], s[4:5]   ; encoding: [0x02,0x04,0xe6,0x8e]

s_xnor_b64 s[10:11], -1, s[4:5]
// CHECK: s_xnor_b64 s[10:11], -1, s[4:5]         ; encoding: [0xc1,0x04,0x8a,0x8e]

s_xnor_b64 s[10:11], -4.0, s[4:5]
// CHECK: s_xnor_b64 s[10:11], -4.0, s[4:5]       ; encoding: [0xf7,0x04,0x8a,0x8e]

s_xnor_b64 s[10:11], 0, s[4:5]
// CHECK: s_xnor_b64 s[10:11], 0, s[4:5]          ; encoding: [0x80,0x04,0x8a,0x8e]

s_xnor_b64 s[10:11], 0.5, s[4:5]
// CHECK: s_xnor_b64 s[10:11], 0.5, s[4:5]        ; encoding: [0xf0,0x04,0x8a,0x8e]

s_xnor_b64 s[10:11], 0x3f717273, s[4:5]
// CHECK: s_xnor_b64 s[10:11], 0x3f717273, s[4:5] ; encoding: [0xff,0x04,0x8a,0x8e,0x73,0x72,0x71,0x3f]

s_xnor_b64 s[10:11], 0xaf123456, s[4:5]
// CHECK: s_xnor_b64 s[10:11], 0xaf123456, s[4:5] ; encoding: [0xff,0x04,0x8a,0x8e,0x56,0x34,0x12,0xaf]

s_xnor_b64 s[10:11], exec, s[4:5]
// CHECK: s_xnor_b64 s[10:11], exec, s[4:5]       ; encoding: [0x7e,0x04,0x8a,0x8e]

s_xnor_b64 s[10:11], flat_scratch, s[4:5]
// CHECK: s_xnor_b64 s[10:11], flat_scratch, s[4:5] ; encoding: [0x68,0x04,0x8a,0x8e]

s_xnor_b64 s[10:11], s[102:103], s[4:5]
// CHECK: s_xnor_b64 s[10:11], s[102:103], s[4:5] ; encoding: [0x66,0x04,0x8a,0x8e]

s_xnor_b64 s[10:11], s[2:3], -1
// CHECK: s_xnor_b64 s[10:11], s[2:3], -1         ; encoding: [0x02,0xc1,0x8a,0x8e]

s_xnor_b64 s[10:11], s[2:3], -4.0
// CHECK: s_xnor_b64 s[10:11], s[2:3], -4.0       ; encoding: [0x02,0xf7,0x8a,0x8e]

s_xnor_b64 s[10:11], s[2:3], 0
// CHECK: s_xnor_b64 s[10:11], s[2:3], 0          ; encoding: [0x02,0x80,0x8a,0x8e]

s_xnor_b64 s[10:11], s[2:3], 0.5
// CHECK: s_xnor_b64 s[10:11], s[2:3], 0.5        ; encoding: [0x02,0xf0,0x8a,0x8e]

s_xnor_b64 s[10:11], s[2:3], 0x3f717273
// CHECK: s_xnor_b64 s[10:11], s[2:3], 0x3f717273 ; encoding: [0x02,0xff,0x8a,0x8e,0x73,0x72,0x71,0x3f]

s_xnor_b64 s[10:11], s[2:3], 0xaf123456
// CHECK: s_xnor_b64 s[10:11], s[2:3], 0xaf123456 ; encoding: [0x02,0xff,0x8a,0x8e,0x56,0x34,0x12,0xaf]

s_xnor_b64 s[10:11], s[2:3], exec
// CHECK: s_xnor_b64 s[10:11], s[2:3], exec       ; encoding: [0x02,0x7e,0x8a,0x8e]

s_xnor_b64 s[10:11], s[2:3], flat_scratch
// CHECK: s_xnor_b64 s[10:11], s[2:3], flat_scratch ; encoding: [0x02,0x68,0x8a,0x8e]

s_xnor_b64 s[10:11], s[2:3], s[102:103]
// CHECK: s_xnor_b64 s[10:11], s[2:3], s[102:103] ; encoding: [0x02,0x66,0x8a,0x8e]

s_xnor_b64 s[10:11], s[2:3], s[4:5]
// CHECK: s_xnor_b64 s[10:11], s[2:3], s[4:5]     ; encoding: [0x02,0x04,0x8a,0x8e]

s_xnor_b64 s[10:11], s[2:3], s[6:7]
// CHECK: s_xnor_b64 s[10:11], s[2:3], s[6:7]     ; encoding: [0x02,0x06,0x8a,0x8e]

s_xnor_b64 s[10:11], s[2:3], src_execz
// CHECK: s_xnor_b64 s[10:11], s[2:3], src_execz  ; encoding: [0x02,0xfc,0x8a,0x8e]

s_xnor_b64 s[10:11], s[2:3], src_scc
// CHECK: s_xnor_b64 s[10:11], s[2:3], src_scc    ; encoding: [0x02,0xfd,0x8a,0x8e]

s_xnor_b64 s[10:11], s[2:3], src_vccz
// CHECK: s_xnor_b64 s[10:11], s[2:3], src_vccz   ; encoding: [0x02,0xfb,0x8a,0x8e]

s_xnor_b64 s[10:11], s[2:3], tba
// CHECK: s_xnor_b64 s[10:11], s[2:3], tba        ; encoding: [0x02,0x6c,0x8a,0x8e]

s_xnor_b64 s[10:11], s[2:3], tma
// CHECK: s_xnor_b64 s[10:11], s[2:3], tma        ; encoding: [0x02,0x6e,0x8a,0x8e]

s_xnor_b64 s[10:11], s[2:3], ttmp[10:11]
// CHECK: s_xnor_b64 s[10:11], s[2:3], ttmp[10:11] ; encoding: [0x02,0x7a,0x8a,0x8e]

s_xnor_b64 s[10:11], s[2:3], vcc
// CHECK: s_xnor_b64 s[10:11], s[2:3], vcc        ; encoding: [0x02,0x6a,0x8a,0x8e]

s_xnor_b64 s[10:11], s[4:5], s[4:5]
// CHECK: s_xnor_b64 s[10:11], s[4:5], s[4:5]     ; encoding: [0x04,0x04,0x8a,0x8e]

s_xnor_b64 s[10:11], src_execz, s[4:5]
// CHECK: s_xnor_b64 s[10:11], src_execz, s[4:5]  ; encoding: [0xfc,0x04,0x8a,0x8e]

s_xnor_b64 s[10:11], src_scc, s[4:5]
// CHECK: s_xnor_b64 s[10:11], src_scc, s[4:5]    ; encoding: [0xfd,0x04,0x8a,0x8e]

s_xnor_b64 s[10:11], src_vccz, s[4:5]
// CHECK: s_xnor_b64 s[10:11], src_vccz, s[4:5]   ; encoding: [0xfb,0x04,0x8a,0x8e]

s_xnor_b64 s[10:11], tba, s[4:5]
// CHECK: s_xnor_b64 s[10:11], tba, s[4:5]        ; encoding: [0x6c,0x04,0x8a,0x8e]

s_xnor_b64 s[10:11], tma, s[4:5]
// CHECK: s_xnor_b64 s[10:11], tma, s[4:5]        ; encoding: [0x6e,0x04,0x8a,0x8e]

s_xnor_b64 s[10:11], ttmp[10:11], s[4:5]
// CHECK: s_xnor_b64 s[10:11], ttmp[10:11], s[4:5] ; encoding: [0x7a,0x04,0x8a,0x8e]

s_xnor_b64 s[10:11], vcc, s[4:5]
// CHECK: s_xnor_b64 s[10:11], vcc, s[4:5]        ; encoding: [0x6a,0x04,0x8a,0x8e]

s_xnor_b64 s[12:13], s[2:3], s[4:5]
// CHECK: s_xnor_b64 s[12:13], s[2:3], s[4:5]     ; encoding: [0x02,0x04,0x8c,0x8e]

s_xnor_b64 tba, s[2:3], s[4:5]
// CHECK: s_xnor_b64 tba, s[2:3], s[4:5]          ; encoding: [0x02,0x04,0xec,0x8e]

s_xnor_b64 tma, s[2:3], s[4:5]
// CHECK: s_xnor_b64 tma, s[2:3], s[4:5]          ; encoding: [0x02,0x04,0xee,0x8e]

s_xnor_b64 ttmp[10:11], s[2:3], s[4:5]
// CHECK: s_xnor_b64 ttmp[10:11], s[2:3], s[4:5]  ; encoding: [0x02,0x04,0xfa,0x8e]

s_xnor_b64 vcc, s[2:3], s[4:5]
// CHECK: s_xnor_b64 vcc, s[2:3], s[4:5]          ; encoding: [0x02,0x04,0xea,0x8e]

s_xor_b32 exec_hi, s1, s2
// CHECK: s_xor_b32 exec_hi, s1, s2               ; encoding: [0x01,0x02,0x7f,0x89]

s_xor_b32 exec_lo, s1, s2
// CHECK: s_xor_b32 exec_lo, s1, s2               ; encoding: [0x01,0x02,0x7e,0x89]

s_xor_b32 flat_scratch_hi, s1, s2
// CHECK: s_xor_b32 flat_scratch_hi, s1, s2       ; encoding: [0x01,0x02,0x69,0x89]

s_xor_b32 flat_scratch_lo, s1, s2
// CHECK: s_xor_b32 flat_scratch_lo, s1, s2       ; encoding: [0x01,0x02,0x68,0x89]

s_xor_b32 m0, s1, s2
// CHECK: s_xor_b32 m0, s1, s2                    ; encoding: [0x01,0x02,0x7c,0x89]

s_xor_b32 s103, s1, s2
// CHECK: s_xor_b32 s103, s1, s2                  ; encoding: [0x01,0x02,0x67,0x89]

s_xor_b32 s5, -1, s2
// CHECK: s_xor_b32 s5, -1, s2                    ; encoding: [0xc1,0x02,0x05,0x89]

s_xor_b32 s5, -4.0, s2
// CHECK: s_xor_b32 s5, -4.0, s2                  ; encoding: [0xf7,0x02,0x05,0x89]

s_xor_b32 s5, 0, s2
// CHECK: s_xor_b32 s5, 0, s2                     ; encoding: [0x80,0x02,0x05,0x89]

s_xor_b32 s5, 0.5, s2
// CHECK: s_xor_b32 s5, 0.5, s2                   ; encoding: [0xf0,0x02,0x05,0x89]

s_xor_b32 s5, 0x3f717273, s2
// CHECK: s_xor_b32 s5, 0x3f717273, s2            ; encoding: [0xff,0x02,0x05,0x89,0x73,0x72,0x71,0x3f]

s_xor_b32 s5, 0xaf123456, s2
// CHECK: s_xor_b32 s5, 0xaf123456, s2            ; encoding: [0xff,0x02,0x05,0x89,0x56,0x34,0x12,0xaf]

s_xor_b32 s5, exec_hi, s2
// CHECK: s_xor_b32 s5, exec_hi, s2               ; encoding: [0x7f,0x02,0x05,0x89]

s_xor_b32 s5, exec_lo, s2
// CHECK: s_xor_b32 s5, exec_lo, s2               ; encoding: [0x7e,0x02,0x05,0x89]

s_xor_b32 s5, flat_scratch_hi, s2
// CHECK: s_xor_b32 s5, flat_scratch_hi, s2       ; encoding: [0x69,0x02,0x05,0x89]

s_xor_b32 s5, flat_scratch_lo, s2
// CHECK: s_xor_b32 s5, flat_scratch_lo, s2       ; encoding: [0x68,0x02,0x05,0x89]

s_xor_b32 s5, m0, s2
// CHECK: s_xor_b32 s5, m0, s2                    ; encoding: [0x7c,0x02,0x05,0x89]

s_xor_b32 s5, s1, -1
// CHECK: s_xor_b32 s5, s1, -1                    ; encoding: [0x01,0xc1,0x05,0x89]

s_xor_b32 s5, s1, -4.0
// CHECK: s_xor_b32 s5, s1, -4.0                  ; encoding: [0x01,0xf7,0x05,0x89]

s_xor_b32 s5, s1, 0
// CHECK: s_xor_b32 s5, s1, 0                     ; encoding: [0x01,0x80,0x05,0x89]

s_xor_b32 s5, s1, 0.5
// CHECK: s_xor_b32 s5, s1, 0.5                   ; encoding: [0x01,0xf0,0x05,0x89]

s_xor_b32 s5, s1, 0x3f717273
// CHECK: s_xor_b32 s5, s1, 0x3f717273            ; encoding: [0x01,0xff,0x05,0x89,0x73,0x72,0x71,0x3f]

s_xor_b32 s5, s1, 0xaf123456
// CHECK: s_xor_b32 s5, s1, 0xaf123456            ; encoding: [0x01,0xff,0x05,0x89,0x56,0x34,0x12,0xaf]

s_xor_b32 s5, s1, exec_hi
// CHECK: s_xor_b32 s5, s1, exec_hi               ; encoding: [0x01,0x7f,0x05,0x89]

s_xor_b32 s5, s1, exec_lo
// CHECK: s_xor_b32 s5, s1, exec_lo               ; encoding: [0x01,0x7e,0x05,0x89]

s_xor_b32 s5, s1, flat_scratch_hi
// CHECK: s_xor_b32 s5, s1, flat_scratch_hi       ; encoding: [0x01,0x69,0x05,0x89]

s_xor_b32 s5, s1, flat_scratch_lo
// CHECK: s_xor_b32 s5, s1, flat_scratch_lo       ; encoding: [0x01,0x68,0x05,0x89]

s_xor_b32 s5, s1, m0
// CHECK: s_xor_b32 s5, s1, m0                    ; encoding: [0x01,0x7c,0x05,0x89]

s_xor_b32 s5, s1, s103
// CHECK: s_xor_b32 s5, s1, s103                  ; encoding: [0x01,0x67,0x05,0x89]

s_xor_b32 s5, s1, s2
// CHECK: s_xor_b32 s5, s1, s2                    ; encoding: [0x01,0x02,0x05,0x89]

s_xor_b32 s5, s1, src_execz
// CHECK: s_xor_b32 s5, s1, src_execz             ; encoding: [0x01,0xfc,0x05,0x89]

s_xor_b32 s5, s1, src_scc
// CHECK: s_xor_b32 s5, s1, src_scc               ; encoding: [0x01,0xfd,0x05,0x89]

s_xor_b32 s5, s1, src_vccz
// CHECK: s_xor_b32 s5, s1, src_vccz              ; encoding: [0x01,0xfb,0x05,0x89]

s_xor_b32 s5, s1, tba_hi
// CHECK: s_xor_b32 s5, s1, tba_hi                ; encoding: [0x01,0x6d,0x05,0x89]

s_xor_b32 s5, s1, tba_lo
// CHECK: s_xor_b32 s5, s1, tba_lo                ; encoding: [0x01,0x6c,0x05,0x89]

s_xor_b32 s5, s1, tma_hi
// CHECK: s_xor_b32 s5, s1, tma_hi                ; encoding: [0x01,0x6f,0x05,0x89]

s_xor_b32 s5, s1, tma_lo
// CHECK: s_xor_b32 s5, s1, tma_lo                ; encoding: [0x01,0x6e,0x05,0x89]

s_xor_b32 s5, s1, ttmp11
// CHECK: s_xor_b32 s5, s1, ttmp11                ; encoding: [0x01,0x7b,0x05,0x89]

s_xor_b32 s5, s1, vcc_hi
// CHECK: s_xor_b32 s5, s1, vcc_hi                ; encoding: [0x01,0x6b,0x05,0x89]

s_xor_b32 s5, s1, vcc_lo
// CHECK: s_xor_b32 s5, s1, vcc_lo                ; encoding: [0x01,0x6a,0x05,0x89]

s_xor_b32 s5, s103, s2
// CHECK: s_xor_b32 s5, s103, s2                  ; encoding: [0x67,0x02,0x05,0x89]

s_xor_b32 s5, src_execz, s2
// CHECK: s_xor_b32 s5, src_execz, s2             ; encoding: [0xfc,0x02,0x05,0x89]

s_xor_b32 s5, src_scc, s2
// CHECK: s_xor_b32 s5, src_scc, s2               ; encoding: [0xfd,0x02,0x05,0x89]

s_xor_b32 s5, src_vccz, s2
// CHECK: s_xor_b32 s5, src_vccz, s2              ; encoding: [0xfb,0x02,0x05,0x89]

s_xor_b32 s5, tba_hi, s2
// CHECK: s_xor_b32 s5, tba_hi, s2                ; encoding: [0x6d,0x02,0x05,0x89]

s_xor_b32 s5, tba_lo, s2
// CHECK: s_xor_b32 s5, tba_lo, s2                ; encoding: [0x6c,0x02,0x05,0x89]

s_xor_b32 s5, tma_hi, s2
// CHECK: s_xor_b32 s5, tma_hi, s2                ; encoding: [0x6f,0x02,0x05,0x89]

s_xor_b32 s5, tma_lo, s2
// CHECK: s_xor_b32 s5, tma_lo, s2                ; encoding: [0x6e,0x02,0x05,0x89]

s_xor_b32 s5, ttmp11, s2
// CHECK: s_xor_b32 s5, ttmp11, s2                ; encoding: [0x7b,0x02,0x05,0x89]

s_xor_b32 s5, vcc_hi, s2
// CHECK: s_xor_b32 s5, vcc_hi, s2                ; encoding: [0x6b,0x02,0x05,0x89]

s_xor_b32 s5, vcc_lo, s2
// CHECK: s_xor_b32 s5, vcc_lo, s2                ; encoding: [0x6a,0x02,0x05,0x89]

s_xor_b32 tba_hi, s1, s2
// CHECK: s_xor_b32 tba_hi, s1, s2                ; encoding: [0x01,0x02,0x6d,0x89]

s_xor_b32 tba_lo, s1, s2
// CHECK: s_xor_b32 tba_lo, s1, s2                ; encoding: [0x01,0x02,0x6c,0x89]

s_xor_b32 tma_hi, s1, s2
// CHECK: s_xor_b32 tma_hi, s1, s2                ; encoding: [0x01,0x02,0x6f,0x89]

s_xor_b32 tma_lo, s1, s2
// CHECK: s_xor_b32 tma_lo, s1, s2                ; encoding: [0x01,0x02,0x6e,0x89]

s_xor_b32 ttmp11, s1, s2
// CHECK: s_xor_b32 ttmp11, s1, s2                ; encoding: [0x01,0x02,0x7b,0x89]

s_xor_b32 vcc_hi, s1, s2
// CHECK: s_xor_b32 vcc_hi, s1, s2                ; encoding: [0x01,0x02,0x6b,0x89]

s_xor_b32 vcc_lo, s1, s2
// CHECK: s_xor_b32 vcc_lo, s1, s2                ; encoding: [0x01,0x02,0x6a,0x89]

s_xor_b64 exec, s[2:3], s[4:5]
// CHECK: s_xor_b64 exec, s[2:3], s[4:5]          ; encoding: [0x02,0x04,0xfe,0x89]

s_xor_b64 flat_scratch, s[2:3], s[4:5]
// CHECK: s_xor_b64 flat_scratch, s[2:3], s[4:5]  ; encoding: [0x02,0x04,0xe8,0x89]

s_xor_b64 s[102:103], s[2:3], s[4:5]
// CHECK: s_xor_b64 s[102:103], s[2:3], s[4:5]    ; encoding: [0x02,0x04,0xe6,0x89]

s_xor_b64 s[10:11], -1, s[4:5]
// CHECK: s_xor_b64 s[10:11], -1, s[4:5]          ; encoding: [0xc1,0x04,0x8a,0x89]

s_xor_b64 s[10:11], -4.0, s[4:5]
// CHECK: s_xor_b64 s[10:11], -4.0, s[4:5]        ; encoding: [0xf7,0x04,0x8a,0x89]

s_xor_b64 s[10:11], 0, s[4:5]
// CHECK: s_xor_b64 s[10:11], 0, s[4:5]           ; encoding: [0x80,0x04,0x8a,0x89]

s_xor_b64 s[10:11], 0.5, s[4:5]
// CHECK: s_xor_b64 s[10:11], 0.5, s[4:5]         ; encoding: [0xf0,0x04,0x8a,0x89]

s_xor_b64 s[10:11], 0x3f717273, s[4:5]
// CHECK: s_xor_b64 s[10:11], 0x3f717273, s[4:5]  ; encoding: [0xff,0x04,0x8a,0x89,0x73,0x72,0x71,0x3f]

s_xor_b64 s[10:11], 0xaf123456, s[4:5]
// CHECK: s_xor_b64 s[10:11], 0xaf123456, s[4:5]  ; encoding: [0xff,0x04,0x8a,0x89,0x56,0x34,0x12,0xaf]

s_xor_b64 s[10:11], exec, s[4:5]
// CHECK: s_xor_b64 s[10:11], exec, s[4:5]        ; encoding: [0x7e,0x04,0x8a,0x89]

s_xor_b64 s[10:11], flat_scratch, s[4:5]
// CHECK: s_xor_b64 s[10:11], flat_scratch, s[4:5] ; encoding: [0x68,0x04,0x8a,0x89]

s_xor_b64 s[10:11], s[102:103], s[4:5]
// CHECK: s_xor_b64 s[10:11], s[102:103], s[4:5]  ; encoding: [0x66,0x04,0x8a,0x89]

s_xor_b64 s[10:11], s[2:3], -1
// CHECK: s_xor_b64 s[10:11], s[2:3], -1          ; encoding: [0x02,0xc1,0x8a,0x89]

s_xor_b64 s[10:11], s[2:3], -4.0
// CHECK: s_xor_b64 s[10:11], s[2:3], -4.0        ; encoding: [0x02,0xf7,0x8a,0x89]

s_xor_b64 s[10:11], s[2:3], 0
// CHECK: s_xor_b64 s[10:11], s[2:3], 0           ; encoding: [0x02,0x80,0x8a,0x89]

s_xor_b64 s[10:11], s[2:3], 0.5
// CHECK: s_xor_b64 s[10:11], s[2:3], 0.5         ; encoding: [0x02,0xf0,0x8a,0x89]

s_xor_b64 s[10:11], s[2:3], 0x3f717273
// CHECK: s_xor_b64 s[10:11], s[2:3], 0x3f717273  ; encoding: [0x02,0xff,0x8a,0x89,0x73,0x72,0x71,0x3f]

s_xor_b64 s[10:11], s[2:3], 0xaf123456
// CHECK: s_xor_b64 s[10:11], s[2:3], 0xaf123456  ; encoding: [0x02,0xff,0x8a,0x89,0x56,0x34,0x12,0xaf]

s_xor_b64 s[10:11], s[2:3], exec
// CHECK: s_xor_b64 s[10:11], s[2:3], exec        ; encoding: [0x02,0x7e,0x8a,0x89]

s_xor_b64 s[10:11], s[2:3], flat_scratch
// CHECK: s_xor_b64 s[10:11], s[2:3], flat_scratch ; encoding: [0x02,0x68,0x8a,0x89]

s_xor_b64 s[10:11], s[2:3], s[102:103]
// CHECK: s_xor_b64 s[10:11], s[2:3], s[102:103]  ; encoding: [0x02,0x66,0x8a,0x89]

s_xor_b64 s[10:11], s[2:3], s[4:5]
// CHECK: s_xor_b64 s[10:11], s[2:3], s[4:5]      ; encoding: [0x02,0x04,0x8a,0x89]

s_xor_b64 s[10:11], s[2:3], s[6:7]
// CHECK: s_xor_b64 s[10:11], s[2:3], s[6:7]      ; encoding: [0x02,0x06,0x8a,0x89]

s_xor_b64 s[10:11], s[2:3], src_execz
// CHECK: s_xor_b64 s[10:11], s[2:3], src_execz   ; encoding: [0x02,0xfc,0x8a,0x89]

s_xor_b64 s[10:11], s[2:3], src_scc
// CHECK: s_xor_b64 s[10:11], s[2:3], src_scc     ; encoding: [0x02,0xfd,0x8a,0x89]

s_xor_b64 s[10:11], s[2:3], src_vccz
// CHECK: s_xor_b64 s[10:11], s[2:3], src_vccz    ; encoding: [0x02,0xfb,0x8a,0x89]

s_xor_b64 s[10:11], s[2:3], tba
// CHECK: s_xor_b64 s[10:11], s[2:3], tba         ; encoding: [0x02,0x6c,0x8a,0x89]

s_xor_b64 s[10:11], s[2:3], tma
// CHECK: s_xor_b64 s[10:11], s[2:3], tma         ; encoding: [0x02,0x6e,0x8a,0x89]

s_xor_b64 s[10:11], s[2:3], ttmp[10:11]
// CHECK: s_xor_b64 s[10:11], s[2:3], ttmp[10:11] ; encoding: [0x02,0x7a,0x8a,0x89]

s_xor_b64 s[10:11], s[2:3], vcc
// CHECK: s_xor_b64 s[10:11], s[2:3], vcc         ; encoding: [0x02,0x6a,0x8a,0x89]

s_xor_b64 s[10:11], s[4:5], s[4:5]
// CHECK: s_xor_b64 s[10:11], s[4:5], s[4:5]      ; encoding: [0x04,0x04,0x8a,0x89]

s_xor_b64 s[10:11], src_execz, s[4:5]
// CHECK: s_xor_b64 s[10:11], src_execz, s[4:5]   ; encoding: [0xfc,0x04,0x8a,0x89]

s_xor_b64 s[10:11], src_scc, s[4:5]
// CHECK: s_xor_b64 s[10:11], src_scc, s[4:5]     ; encoding: [0xfd,0x04,0x8a,0x89]

s_xor_b64 s[10:11], src_vccz, s[4:5]
// CHECK: s_xor_b64 s[10:11], src_vccz, s[4:5]    ; encoding: [0xfb,0x04,0x8a,0x89]

s_xor_b64 s[10:11], tba, s[4:5]
// CHECK: s_xor_b64 s[10:11], tba, s[4:5]         ; encoding: [0x6c,0x04,0x8a,0x89]

s_xor_b64 s[10:11], tma, s[4:5]
// CHECK: s_xor_b64 s[10:11], tma, s[4:5]         ; encoding: [0x6e,0x04,0x8a,0x89]

s_xor_b64 s[10:11], ttmp[10:11], s[4:5]
// CHECK: s_xor_b64 s[10:11], ttmp[10:11], s[4:5] ; encoding: [0x7a,0x04,0x8a,0x89]

s_xor_b64 s[10:11], vcc, s[4:5]
// CHECK: s_xor_b64 s[10:11], vcc, s[4:5]         ; encoding: [0x6a,0x04,0x8a,0x89]

s_xor_b64 s[12:13], s[2:3], s[4:5]
// CHECK: s_xor_b64 s[12:13], s[2:3], s[4:5]      ; encoding: [0x02,0x04,0x8c,0x89]

s_xor_b64 tba, s[2:3], s[4:5]
// CHECK: s_xor_b64 tba, s[2:3], s[4:5]           ; encoding: [0x02,0x04,0xec,0x89]

s_xor_b64 tma, s[2:3], s[4:5]
// CHECK: s_xor_b64 tma, s[2:3], s[4:5]           ; encoding: [0x02,0x04,0xee,0x89]

s_xor_b64 ttmp[10:11], s[2:3], s[4:5]
// CHECK: s_xor_b64 ttmp[10:11], s[2:3], s[4:5]   ; encoding: [0x02,0x04,0xfa,0x89]

s_xor_b64 vcc, s[2:3], s[4:5]
// CHECK: s_xor_b64 vcc, s[2:3], s[4:5]           ; encoding: [0x02,0x04,0xea,0x89]
